;; amdgpu-corpus repo=ROCm/rocFFT kind=compiled arch=gfx906 opt=O3
	.text
	.amdgcn_target "amdgcn-amd-amdhsa--gfx906"
	.amdhsa_code_object_version 6
	.protected	bluestein_single_fwd_len273_dim1_dp_op_CI_CI ; -- Begin function bluestein_single_fwd_len273_dim1_dp_op_CI_CI
	.globl	bluestein_single_fwd_len273_dim1_dp_op_CI_CI
	.p2align	8
	.type	bluestein_single_fwd_len273_dim1_dp_op_CI_CI,@function
bluestein_single_fwd_len273_dim1_dp_op_CI_CI: ; @bluestein_single_fwd_len273_dim1_dp_op_CI_CI
; %bb.0:
	s_load_dwordx4 s[8:11], s[4:5], 0x28
	v_mul_u32_u24_e32 v1, 0x13b2, v0
	s_mov_b64 s[54:55], s[2:3]
	v_lshrrev_b32_e32 v4, 16, v1
	s_mov_b64 s[52:53], s[0:1]
	v_lshl_add_u32 v5, s6, 2, v4
	v_mov_b32_e32 v6, 0
	s_add_u32 s52, s52, s7
	s_waitcnt lgkmcnt(0)
	v_cmp_gt_u64_e32 vcc, s[8:9], v[5:6]
	s_addc_u32 s53, s53, 0
	s_and_saveexec_b64 s[0:1], vcc
	s_cbranch_execz .LBB0_15
; %bb.1:
	s_load_dwordx4 s[0:3], s[4:5], 0x18
	v_mul_lo_u16_e32 v1, 13, v4
	v_sub_u16_e32 v177, v0, v1
	v_mov_b32_e32 v6, v5
	v_lshlrev_b32_e32 v122, 4, v177
	s_waitcnt lgkmcnt(0)
	s_load_dwordx4 s[12:15], s[0:1], 0x0
	buffer_store_dword v6, off, s[52:55], 0 offset:100 ; 4-byte Folded Spill
	s_nop 0
	buffer_store_dword v7, off, s[52:55], 0 offset:104 ; 4-byte Folded Spill
	s_waitcnt lgkmcnt(0)
	v_mad_u64_u32 v[0:1], s[0:1], s14, v5, 0
	v_mad_u64_u32 v[2:3], s[0:1], s12, v177, 0
	;; [unrolled: 1-line block ×4, first 2 shown]
	v_mov_b32_e32 v1, v5
	v_lshlrev_b64 v[0:1], 4, v[0:1]
	v_mov_b32_e32 v3, v6
	v_mov_b32_e32 v7, s11
	v_lshlrev_b64 v[5:6], 4, v[2:3]
	v_add_co_u32_e32 v2, vcc, s10, v0
	v_addc_co_u32_e32 v3, vcc, v7, v1, vcc
	s_mul_i32 s0, s13, 21
	s_mul_hi_u32 s1, s12, 21
	s_load_dwordx2 s[14:15], s[4:5], 0x0
	v_add_co_u32_e32 v0, vcc, v2, v5
	s_add_i32 s1, s1, s0
	s_mul_i32 s0, s12, 21
	v_addc_co_u32_e32 v1, vcc, v3, v6, vcc
	s_lshl_b64 s[16:17], s[0:1], 4
	v_mov_b32_e32 v25, s17
	v_add_co_u32_e32 v13, vcc, s16, v0
	v_addc_co_u32_e32 v14, vcc, v1, v25, vcc
	global_load_dwordx4 v[5:8], v[0:1], off
	global_load_dwordx4 v[9:12], v[13:14], off
	s_waitcnt lgkmcnt(0)
	global_load_dwordx4 v[62:65], v122, s[14:15]
	global_load_dwordx4 v[114:117], v122, s[14:15] offset:336
	v_add_co_u32_e32 v0, vcc, s16, v13
	v_addc_co_u32_e32 v1, vcc, v14, v25, vcc
	v_add_co_u32_e32 v21, vcc, s16, v0
	v_addc_co_u32_e32 v22, vcc, v1, v25, vcc
	global_load_dwordx4 v[13:16], v[0:1], off
	global_load_dwordx4 v[17:20], v[21:22], off
	global_load_dwordx4 v[118:121], v122, s[14:15] offset:672
	global_load_dwordx4 v[98:101], v122, s[14:15] offset:1008
	v_add_co_u32_e32 v0, vcc, s16, v21
	v_addc_co_u32_e32 v1, vcc, v22, v25, vcc
	global_load_dwordx4 v[21:24], v[0:1], off
	v_add_co_u32_e32 v0, vcc, s16, v0
	v_addc_co_u32_e32 v1, vcc, v1, v25, vcc
	global_load_dwordx4 v[26:29], v[0:1], off
	global_load_dwordx4 v[110:113], v122, s[14:15] offset:1344
	global_load_dwordx4 v[94:97], v122, s[14:15] offset:1680
	v_add_co_u32_e32 v0, vcc, s16, v0
	v_addc_co_u32_e32 v1, vcc, v1, v25, vcc
	global_load_dwordx4 v[30:33], v[0:1], off
	v_add_co_u32_e32 v0, vcc, s16, v0
	v_addc_co_u32_e32 v1, vcc, v1, v25, vcc
	;; [unrolled: 8-line block ×4, first 2 shown]
	global_load_dwordx4 v[50:53], v[0:1], off
	global_load_dwordx4 v[82:85], v122, s[14:15] offset:3360
	global_load_dwordx4 v[74:77], v122, s[14:15] offset:3696
	v_add_co_u32_e32 v0, vcc, s16, v0
	v_addc_co_u32_e32 v1, vcc, v1, v25, vcc
	v_and_b32_e32 v4, 3, v4
	global_load_dwordx4 v[54:57], v[0:1], off
	global_load_dwordx4 v[90:93], v122, s[14:15] offset:4032
	s_load_dwordx2 s[6:7], s[4:5], 0x38
	s_load_dwordx4 s[8:11], s[2:3], 0x0
	v_mul_u32_u24_e32 v123, 0x111, v4
	v_mov_b32_e32 v25, s15
	s_waitcnt vmcnt(23)
	v_mul_f64 v[58:59], v[7:8], v[64:65]
	v_mul_f64 v[60:61], v[5:6], v[64:65]
	v_fma_f64 v[4:5], v[5:6], v[62:63], v[58:59]
	buffer_store_dword v62, off, s[52:55], 0 offset:300 ; 4-byte Folded Spill
	s_nop 0
	buffer_store_dword v63, off, s[52:55], 0 offset:304 ; 4-byte Folded Spill
	buffer_store_dword v64, off, s[52:55], 0 offset:308 ; 4-byte Folded Spill
	;; [unrolled: 1-line block ×3, first 2 shown]
	s_waitcnt vmcnt(26)
	v_mul_f64 v[58:59], v[11:12], v[116:117]
	s_waitcnt vmcnt(23)
	v_mul_f64 v[64:65], v[13:14], v[120:121]
	;; [unrolled: 2-line block ×3, first 2 shown]
	v_mul_f64 v[68:69], v[17:18], v[100:101]
	s_waitcnt vmcnt(19)
	v_mul_f64 v[70:71], v[23:24], v[112:113]
	v_mul_f64 v[72:73], v[21:22], v[112:113]
	v_fma_f64 v[6:7], v[7:8], v[62:63], -v[60:61]
	v_mul_f64 v[60:61], v[9:10], v[116:117]
	v_fma_f64 v[8:9], v[9:10], v[114:115], v[58:59]
	buffer_store_dword v114, off, s[52:55], 0 offset:268 ; 4-byte Folded Spill
	s_nop 0
	buffer_store_dword v115, off, s[52:55], 0 offset:272 ; 4-byte Folded Spill
	buffer_store_dword v116, off, s[52:55], 0 offset:276 ; 4-byte Folded Spill
	;; [unrolled: 1-line block ×3, first 2 shown]
	v_mul_f64 v[62:63], v[15:16], v[120:121]
	v_lshlrev_b32_e32 v58, 4, v123
	v_add_u32_e32 v176, v58, v122
	v_fma_f64 v[10:11], v[11:12], v[114:115], -v[60:61]
	v_fma_f64 v[12:13], v[13:14], v[118:119], v[62:63]
	buffer_store_dword v118, off, s[52:55], 0 offset:284 ; 4-byte Folded Spill
	s_nop 0
	buffer_store_dword v119, off, s[52:55], 0 offset:288 ; 4-byte Folded Spill
	buffer_store_dword v120, off, s[52:55], 0 offset:292 ; 4-byte Folded Spill
	buffer_store_dword v121, off, s[52:55], 0 offset:296 ; 4-byte Folded Spill
	v_fma_f64 v[14:15], v[15:16], v[118:119], -v[64:65]
	v_fma_f64 v[16:17], v[17:18], v[98:99], v[66:67]
	buffer_store_dword v98, off, s[52:55], 0 offset:204 ; 4-byte Folded Spill
	s_nop 0
	buffer_store_dword v99, off, s[52:55], 0 offset:208 ; 4-byte Folded Spill
	buffer_store_dword v100, off, s[52:55], 0 offset:212 ; 4-byte Folded Spill
	buffer_store_dword v101, off, s[52:55], 0 offset:216 ; 4-byte Folded Spill
	;; [unrolled: 7-line block ×3, first 2 shown]
	buffer_store_dword v123, off, s[52:55], 0 offset:4 ; 4-byte Folded Spill
	buffer_store_dword v122, off, s[52:55], 0 offset:392 ; 4-byte Folded Spill
	v_fma_f64 v[22:23], v[23:24], v[110:111], -v[72:73]
	ds_write_b128 v176, v[4:7]
	ds_write_b128 v176, v[8:11] offset:336
	ds_write_b128 v176, v[12:15] offset:672
	;; [unrolled: 1-line block ×4, first 2 shown]
	s_waitcnt vmcnt(36)
	v_mul_f64 v[4:5], v[28:29], v[96:97]
	s_waitcnt vmcnt(33)
	v_mul_f64 v[8:9], v[32:33], v[108:109]
	s_waitcnt vmcnt(32)
	v_mul_f64 v[12:13], v[36:37], v[88:89]
	v_mul_f64 v[6:7], v[26:27], v[96:97]
	v_mul_f64 v[10:11], v[30:31], v[108:109]
	;; [unrolled: 1-line block ×3, first 2 shown]
	s_waitcnt vmcnt(29)
	v_mul_f64 v[16:17], v[40:41], v[104:105]
	s_waitcnt vmcnt(28)
	v_mul_f64 v[20:21], v[44:45], v[80:81]
	v_fma_f64 v[4:5], v[26:27], v[94:95], v[4:5]
	buffer_store_dword v94, off, s[52:55], 0 offset:188 ; 4-byte Folded Spill
	s_nop 0
	buffer_store_dword v95, off, s[52:55], 0 offset:192 ; 4-byte Folded Spill
	buffer_store_dword v96, off, s[52:55], 0 offset:196 ; 4-byte Folded Spill
	buffer_store_dword v97, off, s[52:55], 0 offset:200 ; 4-byte Folded Spill
	v_fma_f64 v[8:9], v[30:31], v[106:107], v[8:9]
	buffer_store_dword v106, off, s[52:55], 0 offset:236 ; 4-byte Folded Spill
	s_nop 0
	buffer_store_dword v107, off, s[52:55], 0 offset:240 ; 4-byte Folded Spill
	buffer_store_dword v108, off, s[52:55], 0 offset:244 ; 4-byte Folded Spill
	buffer_store_dword v109, off, s[52:55], 0 offset:248 ; 4-byte Folded Spill
	;; [unrolled: 6-line block ×3, first 2 shown]
	s_waitcnt vmcnt(37)
	v_mul_f64 v[26:27], v[48:49], v[84:85]
	s_waitcnt vmcnt(36)
	v_mul_f64 v[30:31], v[52:53], v[76:77]
	s_waitcnt vmcnt(34)
	v_mul_f64 v[34:35], v[56:57], v[92:93]
	v_mul_f64 v[18:19], v[38:39], v[104:105]
	v_fma_f64 v[16:17], v[38:39], v[102:103], v[16:17]
	buffer_store_dword v102, off, s[52:55], 0 offset:220 ; 4-byte Folded Spill
	s_nop 0
	buffer_store_dword v103, off, s[52:55], 0 offset:224 ; 4-byte Folded Spill
	buffer_store_dword v104, off, s[52:55], 0 offset:228 ; 4-byte Folded Spill
	;; [unrolled: 1-line block ×3, first 2 shown]
	v_mul_f64 v[22:23], v[42:43], v[80:81]
	v_fma_f64 v[20:21], v[42:43], v[78:79], v[20:21]
	buffer_store_dword v78, off, s[52:55], 0 offset:124 ; 4-byte Folded Spill
	s_nop 0
	buffer_store_dword v79, off, s[52:55], 0 offset:128 ; 4-byte Folded Spill
	buffer_store_dword v80, off, s[52:55], 0 offset:132 ; 4-byte Folded Spill
	;; [unrolled: 1-line block ×3, first 2 shown]
	v_fma_f64 v[26:27], v[46:47], v[82:83], v[26:27]
	v_fma_f64 v[30:31], v[50:51], v[74:75], v[30:31]
	;; [unrolled: 1-line block ×3, first 2 shown]
	v_add_co_u32_e64 v24, s[0:1], s14, v122
	v_addc_co_u32_e64 v25, vcc, 0, v25, s[0:1]
	v_cmp_gt_u16_e32 vcc, 8, v177
	v_fma_f64 v[6:7], v[28:29], v[94:95], -v[6:7]
	v_mul_f64 v[28:29], v[46:47], v[84:85]
	buffer_store_dword v82, off, s[52:55], 0 offset:140 ; 4-byte Folded Spill
	s_nop 0
	buffer_store_dword v83, off, s[52:55], 0 offset:144 ; 4-byte Folded Spill
	buffer_store_dword v84, off, s[52:55], 0 offset:148 ; 4-byte Folded Spill
	buffer_store_dword v85, off, s[52:55], 0 offset:152 ; 4-byte Folded Spill
	v_fma_f64 v[10:11], v[32:33], v[106:107], -v[10:11]
	v_mul_f64 v[32:33], v[50:51], v[76:77]
	buffer_store_dword v74, off, s[52:55], 0 offset:108 ; 4-byte Folded Spill
	s_nop 0
	buffer_store_dword v75, off, s[52:55], 0 offset:112 ; 4-byte Folded Spill
	buffer_store_dword v76, off, s[52:55], 0 offset:116 ; 4-byte Folded Spill
	buffer_store_dword v77, off, s[52:55], 0 offset:120 ; 4-byte Folded Spill
	;; [unrolled: 7-line block ×3, first 2 shown]
	v_fma_f64 v[18:19], v[40:41], v[102:103], -v[18:19]
	v_fma_f64 v[22:23], v[44:45], v[78:79], -v[22:23]
	;; [unrolled: 1-line block ×5, first 2 shown]
	ds_write_b128 v176, v[4:7] offset:1680
	ds_write_b128 v176, v[8:11] offset:2016
	;; [unrolled: 1-line block ×8, first 2 shown]
	s_and_saveexec_b64 s[18:19], vcc
	s_cbranch_execz .LBB0_3
; %bb.2:
	v_mov_b32_e32 v4, 0xfffff110
	v_mad_u64_u32 v[0:1], s[2:3], s12, v4, v[0:1]
	s_mul_i32 s2, s13, 0xfffff110
	s_sub_i32 s2, s2, s12
	v_add_u32_e32 v1, s2, v1
	global_load_dwordx4 v[4:7], v[0:1], off
	v_mov_b32_e32 v100, s17
	v_add_co_u32_e64 v0, s[2:3], s16, v0
	v_addc_co_u32_e64 v1, s[2:3], v1, v100, s[2:3]
	global_load_dwordx4 v[8:11], v[0:1], off
	global_load_dwordx4 v[12:15], v[24:25], off offset:208
	global_load_dwordx4 v[16:19], v[24:25], off offset:544
	v_add_co_u32_e64 v0, s[2:3], s16, v0
	v_addc_co_u32_e64 v1, s[2:3], v1, v100, s[2:3]
	global_load_dwordx4 v[20:23], v[0:1], off
	v_add_co_u32_e64 v0, s[2:3], s16, v0
	v_addc_co_u32_e64 v1, s[2:3], v1, v100, s[2:3]
	global_load_dwordx4 v[26:29], v[0:1], off
	global_load_dwordx4 v[30:33], v[24:25], off offset:880
	global_load_dwordx4 v[34:37], v[24:25], off offset:1216
	v_add_co_u32_e64 v0, s[2:3], s16, v0
	v_addc_co_u32_e64 v1, s[2:3], v1, v100, s[2:3]
	global_load_dwordx4 v[38:41], v[0:1], off
	v_add_co_u32_e64 v0, s[2:3], s16, v0
	v_or_b32_e32 v55, 0xa0, v177
	v_addc_co_u32_e64 v1, s[2:3], v1, v100, s[2:3]
	v_mad_u64_u32 v[58:59], s[2:3], s12, v55, 0
	global_load_dwordx4 v[42:45], v[0:1], off
	global_load_dwordx4 v[46:49], v[24:25], off offset:1552
	global_load_dwordx4 v[50:53], v[24:25], off offset:1888
	v_mov_b32_e32 v54, v59
	v_mad_u64_u32 v[59:60], s[2:3], s13, v55, v[54:55]
	v_add_co_u32_e64 v60, s[2:3], s16, v0
	v_addc_co_u32_e64 v61, s[2:3], v1, v100, s[2:3]
	v_lshlrev_b64 v[0:1], 4, v[58:59]
	v_mov_b32_e32 v58, 0x2a0
	v_add_co_u32_e64 v0, s[2:3], v2, v0
	v_addc_co_u32_e64 v1, s[2:3], v3, v1, s[2:3]
	v_mad_u64_u32 v[70:71], s[2:3], s12, v58, v[60:61]
	s_mul_i32 s2, s13, 0x2a0
	global_load_dwordx4 v[54:57], v[60:61], off
	v_add_u32_e32 v71, s2, v71
	v_add_co_u32_e64 v82, s[2:3], s16, v70
	global_load_dwordx4 v[0:3], v[0:1], off
	s_nop 0
	global_load_dwordx4 v[58:61], v[24:25], off offset:2224
	global_load_dwordx4 v[62:65], v[24:25], off offset:2560
	global_load_dwordx4 v[66:69], v[70:71], off
	v_addc_co_u32_e64 v83, s[2:3], v71, v100, s[2:3]
	global_load_dwordx4 v[70:73], v[82:83], off
	global_load_dwordx4 v[74:77], v[24:25], off offset:2896
	global_load_dwordx4 v[78:81], v[24:25], off offset:3232
	v_add_co_u32_e64 v86, s[2:3], s16, v82
	v_addc_co_u32_e64 v87, s[2:3], v83, v100, s[2:3]
	v_add_co_u32_e64 v98, s[2:3], s16, v86
	v_addc_co_u32_e64 v99, s[2:3], v87, v100, s[2:3]
	global_load_dwordx4 v[82:85], v[86:87], off
	s_nop 0
	global_load_dwordx4 v[86:89], v[98:99], off
	global_load_dwordx4 v[90:93], v[24:25], off offset:3568
	global_load_dwordx4 v[94:97], v[24:25], off offset:3904
	v_add_co_u32_e64 v98, s[2:3], s16, v98
	v_addc_co_u32_e64 v99, s[2:3], v99, v100, s[2:3]
	s_movk_i32 s2, 0x1000
	v_add_co_u32_e64 v102, s[2:3], s2, v24
	v_addc_co_u32_e64 v103, s[2:3], 0, v25, s[2:3]
	global_load_dwordx4 v[98:101], v[98:99], off
	s_waitcnt vmcnt(22)
	v_mul_f64 v[106:107], v[6:7], v[14:15]
	global_load_dwordx4 v[102:105], v[102:103], off offset:144
	v_mul_f64 v[14:15], v[4:5], v[14:15]
	v_fma_f64 v[4:5], v[4:5], v[12:13], v[106:107]
	v_fma_f64 v[6:7], v[6:7], v[12:13], -v[14:15]
	s_waitcnt vmcnt(22)
	v_mul_f64 v[12:13], v[10:11], v[18:19]
	v_mul_f64 v[14:15], v[8:9], v[18:19]
	s_waitcnt vmcnt(19)
	v_mul_f64 v[18:19], v[22:23], v[32:33]
	v_mul_f64 v[32:33], v[20:21], v[32:33]
	;; [unrolled: 3-line block ×3, first 2 shown]
	v_fma_f64 v[8:9], v[8:9], v[16:17], v[12:13]
	v_fma_f64 v[10:11], v[10:11], v[16:17], -v[14:15]
	v_fma_f64 v[12:13], v[20:21], v[30:31], v[18:19]
	v_fma_f64 v[14:15], v[22:23], v[30:31], -v[32:33]
	s_waitcnt vmcnt(15)
	v_mul_f64 v[108:109], v[40:41], v[48:49]
	v_mul_f64 v[48:49], v[38:39], v[48:49]
	v_fma_f64 v[16:17], v[26:27], v[34:35], v[106:107]
	v_fma_f64 v[18:19], v[28:29], v[34:35], -v[36:37]
	v_fma_f64 v[20:21], v[38:39], v[46:47], v[108:109]
	v_fma_f64 v[22:23], v[40:41], v[46:47], -v[48:49]
	ds_write_b128 v176, v[4:7] offset:208
	ds_write_b128 v176, v[8:11] offset:544
	;; [unrolled: 1-line block ×5, first 2 shown]
	s_waitcnt vmcnt(14)
	v_mul_f64 v[4:5], v[44:45], v[52:53]
	v_mul_f64 v[6:7], v[42:43], v[52:53]
	v_fma_f64 v[4:5], v[42:43], v[50:51], v[4:5]
	s_waitcnt vmcnt(11)
	v_mul_f64 v[8:9], v[56:57], v[60:61]
	s_waitcnt vmcnt(10)
	v_mul_f64 v[12:13], v[2:3], v[64:65]
	v_mul_f64 v[14:15], v[0:1], v[64:65]
	;; [unrolled: 1-line block ×3, first 2 shown]
	s_waitcnt vmcnt(7)
	v_mul_f64 v[16:17], v[68:69], v[76:77]
	v_mul_f64 v[18:19], v[66:67], v[76:77]
	v_fma_f64 v[6:7], v[44:45], v[50:51], -v[6:7]
	v_fma_f64 v[8:9], v[54:55], v[58:59], v[8:9]
	v_fma_f64 v[0:1], v[0:1], v[62:63], v[12:13]
	v_fma_f64 v[2:3], v[2:3], v[62:63], -v[14:15]
	v_fma_f64 v[10:11], v[56:57], v[58:59], -v[10:11]
	v_fma_f64 v[12:13], v[66:67], v[74:75], v[16:17]
	v_fma_f64 v[14:15], v[68:69], v[74:75], -v[18:19]
	s_waitcnt vmcnt(6)
	v_mul_f64 v[16:17], v[72:73], v[80:81]
	v_mul_f64 v[18:19], v[70:71], v[80:81]
	s_waitcnt vmcnt(3)
	v_mul_f64 v[20:21], v[84:85], v[92:93]
	v_mul_f64 v[22:23], v[82:83], v[92:93]
	;; [unrolled: 3-line block ×3, first 2 shown]
	v_fma_f64 v[16:17], v[70:71], v[78:79], v[16:17]
	v_fma_f64 v[18:19], v[72:73], v[78:79], -v[18:19]
	v_fma_f64 v[20:21], v[82:83], v[90:91], v[20:21]
	v_fma_f64 v[22:23], v[84:85], v[90:91], -v[22:23]
	;; [unrolled: 2-line block ×3, first 2 shown]
	s_waitcnt vmcnt(0)
	v_mul_f64 v[30:31], v[100:101], v[104:105]
	v_mul_f64 v[32:33], v[98:99], v[104:105]
	v_fma_f64 v[30:31], v[98:99], v[102:103], v[30:31]
	v_fma_f64 v[32:33], v[100:101], v[102:103], -v[32:33]
	ds_write_b128 v176, v[4:7] offset:1888
	ds_write_b128 v176, v[8:11] offset:2224
	;; [unrolled: 1-line block ×8, first 2 shown]
.LBB0_3:
	s_or_b64 exec, exec, s[18:19]
	s_waitcnt lgkmcnt(0)
	; wave barrier
	s_waitcnt lgkmcnt(0)
	ds_read_b128 v[68:71], v176
	ds_read_b128 v[16:19], v176 offset:336
	ds_read_b128 v[128:131], v176 offset:672
	;; [unrolled: 1-line block ×12, first 2 shown]
	s_load_dwordx2 s[4:5], s[4:5], 0x8
                                        ; implicit-def: $vgpr72_vgpr73
                                        ; implicit-def: $vgpr76_vgpr77
                                        ; implicit-def: $vgpr80_vgpr81
                                        ; implicit-def: $vgpr84_vgpr85
                                        ; implicit-def: $vgpr88_vgpr89
                                        ; implicit-def: $vgpr92_vgpr93
                                        ; implicit-def: $vgpr96_vgpr97
                                        ; implicit-def: $vgpr100_vgpr101
                                        ; implicit-def: $vgpr104_vgpr105
                                        ; implicit-def: $vgpr108_vgpr109
                                        ; implicit-def: $vgpr112_vgpr113
                                        ; implicit-def: $vgpr116_vgpr117
                                        ; implicit-def: $vgpr120_vgpr121
	s_and_saveexec_b64 s[2:3], vcc
	s_cbranch_execz .LBB0_5
; %bb.4:
	ds_read_b128 v[72:75], v176 offset:208
	ds_read_b128 v[76:79], v176 offset:544
	;; [unrolled: 1-line block ×13, first 2 shown]
.LBB0_5:
	s_or_b64 exec, exec, s[2:3]
	s_waitcnt lgkmcnt(0)
	v_add_f64 v[20:21], v[68:69], v[16:17]
	v_add_f64 v[22:23], v[70:71], v[18:19]
	;; [unrolled: 1-line block ×3, first 2 shown]
	v_add_f64 v[16:17], v[16:17], -v[124:125]
	s_mov_b32 s26, 0x2ef20147
	s_mov_b32 s36, 0x24c2f84
	;; [unrolled: 1-line block ×4, first 2 shown]
	v_add_f64 v[20:21], v[20:21], v[128:129]
	v_add_f64 v[22:23], v[22:23], v[130:131]
	;; [unrolled: 1-line block ×3, first 2 shown]
	v_add_f64 v[18:19], v[18:19], -v[126:127]
	v_mul_f64 v[44:45], v[16:17], s[26:27]
	v_mul_f64 v[48:49], v[16:17], s[36:37]
	s_mov_b32 s22, 0xb2365da1
	s_mov_b32 s20, 0xd0032e0c
	v_add_f64 v[20:21], v[20:21], v[12:13]
	v_add_f64 v[22:23], v[22:23], v[14:15]
	s_mov_b32 s23, 0xbfd6b1d8
	s_mov_b32 s21, 0xbfe7f3cc
	v_mul_f64 v[42:43], v[18:19], s[26:27]
	v_mul_f64 v[46:47], v[18:19], s[36:37]
	v_fma_f64 v[148:149], v[28:29], s[22:23], v[44:45]
	v_fma_f64 v[152:153], v[28:29], s[20:21], v[48:49]
	v_add_f64 v[20:21], v[20:21], v[4:5]
	v_add_f64 v[22:23], v[22:23], v[6:7]
	s_mov_b32 s34, 0x4267c47c
	s_mov_b32 s28, 0x42a4c3d2
	s_mov_b32 s30, 0x66966769
	s_mov_b32 s38, 0x4bc48dbf
	s_mov_b32 s35, 0xbfddbe06
	s_mov_b32 s29, 0xbfea55e2
	v_add_f64 v[20:21], v[20:21], v[56:57]
	v_add_f64 v[22:23], v[22:23], v[58:59]
	s_mov_b32 s31, 0xbfefc445
	s_mov_b32 s39, 0xbfcea1e5
	v_mul_f64 v[30:31], v[18:19], s[34:35]
	v_mul_f64 v[32:33], v[16:17], s[34:35]
	;; [unrolled: 1-line block ×4, first 2 shown]
	v_add_f64 v[20:21], v[20:21], v[0:1]
	v_add_f64 v[22:23], v[22:23], v[2:3]
	v_mul_f64 v[38:39], v[18:19], s[30:31]
	v_mul_f64 v[40:41], v[16:17], s[30:31]
	v_fma_f64 v[146:147], v[26:27], s[22:23], -v[42:43]
	v_fma_f64 v[42:43], v[26:27], s[22:23], v[42:43]
	v_fma_f64 v[44:45], v[28:29], s[22:23], -v[44:45]
	v_fma_f64 v[150:151], v[26:27], s[20:21], -v[46:47]
	v_add_f64 v[20:21], v[20:21], v[52:53]
	v_add_f64 v[22:23], v[22:23], v[54:55]
	v_mul_f64 v[18:19], v[18:19], s[38:39]
	v_mul_f64 v[16:17], v[16:17], s[38:39]
	s_mov_b32 s12, 0xe00740e9
	s_mov_b32 s16, 0x1ea71119
	;; [unrolled: 1-line block ×4, first 2 shown]
	v_add_f64 v[20:21], v[20:21], v[60:61]
	v_add_f64 v[22:23], v[22:23], v[62:63]
	s_mov_b32 s13, 0x3fec55a7
	s_mov_b32 s17, 0x3fe22d96
	;; [unrolled: 1-line block ×4, first 2 shown]
	v_fma_f64 v[50:51], v[26:27], s[12:13], -v[30:31]
	v_fma_f64 v[136:137], v[28:29], s[12:13], v[32:33]
	v_add_f64 v[20:21], v[20:21], v[8:9]
	v_add_f64 v[22:23], v[22:23], v[10:11]
	v_fma_f64 v[30:31], v[26:27], s[12:13], v[30:31]
	v_fma_f64 v[32:33], v[28:29], s[12:13], -v[32:33]
	v_fma_f64 v[138:139], v[26:27], s[16:17], -v[34:35]
	v_fma_f64 v[140:141], v[28:29], s[16:17], v[36:37]
	v_fma_f64 v[34:35], v[26:27], s[16:17], v[34:35]
	v_fma_f64 v[36:37], v[28:29], s[16:17], -v[36:37]
	v_add_f64 v[20:21], v[20:21], v[64:65]
	v_add_f64 v[22:23], v[22:23], v[66:67]
	v_fma_f64 v[142:143], v[26:27], s[18:19], -v[38:39]
	v_fma_f64 v[144:145], v[28:29], s[18:19], v[40:41]
	v_fma_f64 v[38:39], v[26:27], s[18:19], v[38:39]
	v_fma_f64 v[40:41], v[28:29], s[18:19], -v[40:41]
	v_fma_f64 v[46:47], v[26:27], s[20:21], v[46:47]
	v_fma_f64 v[48:49], v[28:29], s[20:21], -v[48:49]
	v_add_f64 v[20:21], v[20:21], v[132:133]
	v_add_f64 v[22:23], v[22:23], v[134:135]
	v_fma_f64 v[154:155], v[26:27], s[24:25], -v[18:19]
	v_fma_f64 v[156:157], v[28:29], s[24:25], v[16:17]
	v_fma_f64 v[18:19], v[26:27], s[24:25], v[18:19]
	v_fma_f64 v[16:17], v[28:29], s[24:25], -v[16:17]
	v_add_f64 v[50:51], v[68:69], v[50:51]
	v_add_f64 v[136:137], v[70:71], v[136:137]
	;; [unrolled: 1-line block ×5, first 2 shown]
	v_add_f64 v[152:153], v[128:129], -v[132:133]
	v_add_f64 v[126:127], v[22:23], v[126:127]
	v_add_f64 v[22:23], v[68:69], v[42:43]
	;; [unrolled: 1-line block ×4, first 2 shown]
	v_add_f64 v[150:151], v[130:131], -v[134:135]
	v_add_f64 v[130:131], v[130:131], v[134:135]
	v_add_f64 v[30:31], v[68:69], v[30:31]
	v_mul_f64 v[134:135], v[152:153], s[28:29]
	v_add_f64 v[32:33], v[70:71], v[32:33]
	v_add_f64 v[138:139], v[68:69], v[138:139]
	;; [unrolled: 1-line block ×11, first 2 shown]
	v_mul_f64 v[132:133], v[150:151], s[28:29]
	v_add_f64 v[26:27], v[68:69], v[46:47]
	v_add_f64 v[28:29], v[70:71], v[48:49]
	v_fma_f64 v[48:49], v[130:131], s[16:17], v[134:135]
	v_add_f64 v[154:155], v[68:69], v[154:155]
	v_add_f64 v[156:157], v[70:71], v[156:157]
	;; [unrolled: 1-line block ×4, first 2 shown]
	v_mul_f64 v[68:69], v[150:151], s[26:27]
	v_mul_f64 v[70:71], v[152:153], s[26:27]
	v_fma_f64 v[46:47], v[128:129], s[16:17], -v[132:133]
	v_add_f64 v[48:49], v[48:49], v[136:137]
	v_mul_f64 v[136:137], v[152:153], s[38:39]
	v_fma_f64 v[132:133], v[128:129], s[16:17], v[132:133]
	v_fma_f64 v[134:135], v[130:131], s[16:17], -v[134:135]
	s_mov_b32 s43, 0x3fe5384d
	v_fma_f64 v[158:159], v[128:129], s[22:23], -v[68:69]
	v_fma_f64 v[160:161], v[130:131], s[22:23], v[70:71]
	s_mov_b32 s42, s36
	v_fma_f64 v[70:71], v[130:131], s[22:23], -v[70:71]
	v_fma_f64 v[164:165], v[130:131], s[24:25], v[136:137]
	v_add_f64 v[30:31], v[132:133], v[30:31]
	v_add_f64 v[32:33], v[134:135], v[32:33]
	s_mov_b32 s41, 0x3fefc445
	v_add_f64 v[132:133], v[158:159], v[138:139]
	v_add_f64 v[134:135], v[160:161], v[140:141]
	v_mul_f64 v[138:139], v[150:151], s[42:43]
	v_mul_f64 v[140:141], v[152:153], s[42:43]
	s_mov_b32 s40, s30
	v_add_f64 v[46:47], v[46:47], v[50:51]
	v_mul_f64 v[50:51], v[150:151], s[38:39]
	v_add_f64 v[36:37], v[70:71], v[36:37]
	v_add_f64 v[70:71], v[164:165], v[144:145]
	v_mul_f64 v[144:145], v[152:153], s[40:41]
	v_fma_f64 v[158:159], v[128:129], s[20:21], -v[138:139]
	v_fma_f64 v[160:161], v[130:131], s[20:21], v[140:141]
	v_fma_f64 v[138:139], v[128:129], s[20:21], v[138:139]
	v_fma_f64 v[140:141], v[130:131], s[20:21], -v[140:141]
	v_fma_f64 v[68:69], v[128:129], s[22:23], v[68:69]
	v_fma_f64 v[162:163], v[128:129], s[24:25], -v[50:51]
	;; [unrolled: 2-line block ×3, first 2 shown]
	v_fma_f64 v[164:165], v[130:131], s[18:19], v[144:145]
	s_mov_b32 s45, 0x3fddbe06
	v_add_f64 v[22:23], v[138:139], v[22:23]
	v_add_f64 v[42:43], v[140:141], v[42:43]
	v_add_f64 v[138:139], v[14:15], -v[66:67]
	v_add_f64 v[140:141], v[12:13], -v[64:65]
	s_mov_b32 s44, s34
	v_add_f64 v[34:35], v[68:69], v[34:35]
	v_add_f64 v[68:69], v[162:163], v[142:143]
	v_mul_f64 v[142:143], v[150:151], s[40:41]
	v_add_f64 v[38:39], v[50:51], v[38:39]
	v_add_f64 v[40:41], v[136:137], v[40:41]
	;; [unrolled: 1-line block ×4, first 2 shown]
	v_mul_f64 v[146:147], v[150:151], s[44:45]
	v_mul_f64 v[148:149], v[152:153], s[44:45]
	v_add_f64 v[12:13], v[12:13], v[64:65]
	v_add_f64 v[14:15], v[14:15], v[66:67]
	v_mul_f64 v[64:65], v[138:139], s[30:31]
	v_mul_f64 v[66:67], v[140:141], s[30:31]
	v_fma_f64 v[162:163], v[128:129], s[18:19], -v[142:143]
	v_fma_f64 v[142:143], v[128:129], s[18:19], v[142:143]
	v_fma_f64 v[144:145], v[130:131], s[18:19], -v[144:145]
	v_fma_f64 v[150:151], v[128:129], s[12:13], -v[146:147]
	v_fma_f64 v[152:153], v[130:131], s[12:13], v[148:149]
	v_fma_f64 v[128:129], v[128:129], s[12:13], v[146:147]
	v_fma_f64 v[130:131], v[130:131], s[12:13], -v[148:149]
	v_fma_f64 v[146:147], v[12:13], s[18:19], -v[64:65]
	v_fma_f64 v[148:149], v[14:15], s[18:19], v[66:67]
	s_mov_b32 s47, 0x3fedeba7
	s_mov_b32 s46, s26
	v_fma_f64 v[64:65], v[12:13], s[18:19], v[64:65]
	v_fma_f64 v[66:67], v[14:15], s[18:19], -v[66:67]
	v_add_f64 v[28:29], v[144:145], v[28:29]
	v_add_f64 v[16:17], v[130:131], v[16:17]
	;; [unrolled: 1-line block ×4, first 2 shown]
	v_mul_f64 v[130:131], v[140:141], s[38:39]
	v_mul_f64 v[146:147], v[138:139], s[46:47]
	;; [unrolled: 1-line block ×3, first 2 shown]
	v_add_f64 v[144:145], v[152:153], v[156:157]
	v_add_f64 v[18:19], v[128:129], v[18:19]
	v_mul_f64 v[128:129], v[138:139], s[38:39]
	v_add_f64 v[30:31], v[64:65], v[30:31]
	v_add_f64 v[32:33], v[66:67], v[32:33]
	v_fma_f64 v[152:153], v[14:15], s[24:25], v[130:131]
	v_fma_f64 v[130:131], v[14:15], s[24:25], -v[130:131]
	v_fma_f64 v[64:65], v[12:13], s[22:23], -v[146:147]
	v_fma_f64 v[66:67], v[14:15], s[22:23], v[148:149]
	v_add_f64 v[26:27], v[142:143], v[26:27]
	v_add_f64 v[142:143], v[150:151], v[154:155]
	v_fma_f64 v[150:151], v[12:13], s[24:25], -v[128:129]
	v_fma_f64 v[128:129], v[12:13], s[24:25], v[128:129]
	v_add_f64 v[44:45], v[162:163], v[44:45]
	v_add_f64 v[36:37], v[130:131], v[36:37]
	v_mul_f64 v[130:131], v[140:141], s[44:45]
	v_add_f64 v[64:65], v[64:65], v[68:69]
	v_add_f64 v[66:67], v[66:67], v[70:71]
	v_fma_f64 v[68:69], v[12:13], s[22:23], v[146:147]
	v_fma_f64 v[70:71], v[14:15], s[22:23], -v[148:149]
	v_mul_f64 v[146:147], v[138:139], s[28:29]
	v_mul_f64 v[148:149], v[140:141], s[28:29]
	v_add_f64 v[134:135], v[152:153], v[134:135]
	v_add_f64 v[34:35], v[128:129], v[34:35]
	v_mul_f64 v[128:129], v[138:139], s[44:45]
	v_fma_f64 v[152:153], v[14:15], s[12:13], v[130:131]
	v_fma_f64 v[130:131], v[14:15], s[12:13], -v[130:131]
	v_add_f64 v[38:39], v[68:69], v[38:39]
	v_add_f64 v[40:41], v[70:71], v[40:41]
	v_fma_f64 v[68:69], v[12:13], s[16:17], -v[146:147]
	v_fma_f64 v[70:71], v[14:15], s[16:17], v[148:149]
	v_add_f64 v[132:133], v[150:151], v[132:133]
	v_fma_f64 v[150:151], v[12:13], s[12:13], -v[128:129]
	v_fma_f64 v[128:129], v[12:13], s[12:13], v[128:129]
	v_add_f64 v[42:43], v[130:131], v[42:43]
	v_mul_f64 v[130:131], v[140:141], s[36:37]
	v_fma_f64 v[140:141], v[14:15], s[16:17], -v[148:149]
	v_add_f64 v[44:45], v[68:69], v[44:45]
	v_add_f64 v[68:69], v[70:71], v[136:137]
	v_add_f64 v[70:71], v[6:7], -v[10:11]
	v_add_f64 v[136:137], v[4:5], -v[8:9]
	v_add_f64 v[22:23], v[128:129], v[22:23]
	v_mul_f64 v[128:129], v[138:139], s[36:37]
	v_fma_f64 v[138:139], v[12:13], s[16:17], v[146:147]
	v_fma_f64 v[148:149], v[14:15], s[20:21], v[130:131]
	v_add_f64 v[4:5], v[4:5], v[8:9]
	v_fma_f64 v[14:15], v[14:15], s[20:21], -v[130:131]
	v_mul_f64 v[8:9], v[70:71], s[26:27]
	v_add_f64 v[6:7], v[6:7], v[10:11]
	v_mul_f64 v[10:11], v[136:137], s[26:27]
	v_fma_f64 v[146:147], v[12:13], s[20:21], -v[128:129]
	v_fma_f64 v[12:13], v[12:13], s[20:21], v[128:129]
	v_add_f64 v[26:27], v[138:139], v[26:27]
	v_add_f64 v[28:29], v[140:141], v[28:29]
	;; [unrolled: 1-line block ×3, first 2 shown]
	v_fma_f64 v[138:139], v[4:5], s[22:23], -v[8:9]
	v_mul_f64 v[16:17], v[70:71], s[42:43]
	v_fma_f64 v[140:141], v[6:7], s[22:23], v[10:11]
	v_add_f64 v[128:129], v[146:147], v[142:143]
	v_add_f64 v[12:13], v[12:13], v[18:19]
	v_mul_f64 v[18:19], v[136:137], s[42:43]
	v_fma_f64 v[8:9], v[4:5], s[22:23], v[8:9]
	v_add_f64 v[130:131], v[148:149], v[144:145]
	v_add_f64 v[46:47], v[138:139], v[46:47]
	v_mul_f64 v[138:139], v[70:71], s[44:45]
	v_fma_f64 v[142:143], v[4:5], s[20:21], -v[16:17]
	v_fma_f64 v[10:11], v[6:7], s[22:23], -v[10:11]
	v_add_f64 v[48:49], v[140:141], v[48:49]
	v_mul_f64 v[140:141], v[136:137], s[44:45]
	v_fma_f64 v[144:145], v[6:7], s[20:21], v[18:19]
	v_add_f64 v[8:9], v[8:9], v[30:31]
	v_fma_f64 v[16:17], v[4:5], s[20:21], v[16:17]
	v_fma_f64 v[18:19], v[6:7], s[20:21], -v[18:19]
	v_fma_f64 v[30:31], v[4:5], s[12:13], -v[138:139]
	v_add_f64 v[132:133], v[142:143], v[132:133]
	v_mul_f64 v[142:143], v[70:71], s[30:31]
	s_mov_b32 s51, 0x3fcea1e5
	s_mov_b32 s50, s38
	v_add_f64 v[20:21], v[160:161], v[20:21]
	v_add_f64 v[50:51], v[150:151], v[50:51]
	;; [unrolled: 1-line block ×3, first 2 shown]
	v_fma_f64 v[32:33], v[6:7], s[12:13], v[140:141]
	v_add_f64 v[134:135], v[144:145], v[134:135]
	v_mul_f64 v[144:145], v[136:137], s[30:31]
	v_add_f64 v[16:17], v[16:17], v[34:35]
	v_add_f64 v[18:19], v[18:19], v[36:37]
	;; [unrolled: 1-line block ×3, first 2 shown]
	v_fma_f64 v[34:35], v[4:5], s[12:13], v[138:139]
	v_fma_f64 v[36:37], v[6:7], s[12:13], -v[140:141]
	v_fma_f64 v[64:65], v[4:5], s[18:19], -v[142:143]
	v_mul_f64 v[138:139], v[70:71], s[50:51]
	v_fma_f64 v[140:141], v[4:5], s[18:19], v[142:143]
	v_mul_f64 v[142:143], v[136:137], s[50:51]
	v_add_f64 v[20:21], v[152:153], v[20:21]
	v_add_f64 v[32:33], v[32:33], v[66:67]
	v_fma_f64 v[66:67], v[6:7], s[18:19], v[144:145]
	v_add_f64 v[34:35], v[34:35], v[38:39]
	v_add_f64 v[36:37], v[36:37], v[40:41]
	;; [unrolled: 1-line block ×3, first 2 shown]
	v_fma_f64 v[40:41], v[4:5], s[24:25], -v[138:139]
	v_fma_f64 v[50:51], v[6:7], s[24:25], v[142:143]
	s_mov_b32 s49, 0x3fea55e2
	s_mov_b32 s48, s28
	v_add_f64 v[20:21], v[66:67], v[20:21]
	v_mul_f64 v[64:65], v[70:71], s[48:49]
	v_mul_f64 v[66:67], v[136:137], s[48:49]
	v_fma_f64 v[144:145], v[6:7], s[18:19], -v[144:145]
	v_add_f64 v[40:41], v[40:41], v[44:45]
	v_add_f64 v[44:45], v[58:59], -v[62:63]
	v_add_f64 v[50:51], v[50:51], v[68:69]
	v_add_f64 v[68:69], v[56:57], -v[60:61]
	v_add_f64 v[22:23], v[140:141], v[22:23]
	v_fma_f64 v[70:71], v[4:5], s[24:25], v[138:139]
	v_fma_f64 v[136:137], v[6:7], s[24:25], -v[142:143]
	v_fma_f64 v[138:139], v[4:5], s[16:17], -v[64:65]
	v_fma_f64 v[140:141], v[6:7], s[16:17], v[66:67]
	v_add_f64 v[56:57], v[56:57], v[60:61]
	v_mul_f64 v[60:61], v[44:45], s[36:37]
	v_add_f64 v[58:59], v[58:59], v[62:63]
	v_mul_f64 v[62:63], v[68:69], s[36:37]
	v_fma_f64 v[4:5], v[4:5], s[16:17], v[64:65]
	v_fma_f64 v[6:7], v[6:7], s[16:17], -v[66:67]
	v_add_f64 v[64:65], v[138:139], v[128:129]
	v_add_f64 v[26:27], v[70:71], v[26:27]
	;; [unrolled: 1-line block ×3, first 2 shown]
	v_fma_f64 v[66:67], v[56:57], s[20:21], -v[60:61]
	v_fma_f64 v[60:61], v[56:57], s[20:21], v[60:61]
	v_fma_f64 v[128:129], v[58:59], s[20:21], v[62:63]
	v_add_f64 v[4:5], v[4:5], v[12:13]
	v_add_f64 v[6:7], v[6:7], v[14:15]
	v_mul_f64 v[12:13], v[44:45], s[40:41]
	v_mul_f64 v[14:15], v[68:69], s[40:41]
	v_add_f64 v[70:71], v[140:141], v[130:131]
	v_add_f64 v[46:47], v[66:67], v[46:47]
	v_fma_f64 v[62:63], v[58:59], s[20:21], -v[62:63]
	v_add_f64 v[48:49], v[128:129], v[48:49]
	v_mul_f64 v[66:67], v[44:45], s[28:29]
	v_mul_f64 v[128:129], v[68:69], s[28:29]
	v_fma_f64 v[130:131], v[56:57], s[18:19], -v[12:13]
	v_fma_f64 v[136:137], v[58:59], s[18:19], v[14:15]
	v_add_f64 v[60:61], v[60:61], v[8:9]
	v_fma_f64 v[8:9], v[56:57], s[18:19], v[12:13]
	v_add_f64 v[12:13], v[62:63], v[10:11]
	v_fma_f64 v[10:11], v[58:59], s[18:19], -v[14:15]
	v_fma_f64 v[14:15], v[56:57], s[16:17], -v[66:67]
	v_fma_f64 v[62:63], v[58:59], s[16:17], v[128:129]
	v_add_f64 v[130:131], v[130:131], v[132:133]
	v_add_f64 v[132:133], v[136:137], v[134:135]
	v_mul_f64 v[134:135], v[44:45], s[50:51]
	v_add_f64 v[16:17], v[8:9], v[16:17]
	v_mul_f64 v[8:9], v[68:69], s[50:51]
	v_add_f64 v[42:43], v[144:145], v[42:43]
	v_add_f64 v[18:19], v[10:11], v[18:19]
	v_add_f64 v[30:31], v[14:15], v[30:31]
	v_add_f64 v[32:33], v[62:63], v[32:33]
	v_fma_f64 v[10:11], v[56:57], s[16:17], v[66:67]
	v_fma_f64 v[14:15], v[58:59], s[16:17], -v[128:129]
	v_fma_f64 v[62:63], v[56:57], s[24:25], -v[134:135]
	v_mul_f64 v[66:67], v[44:45], s[44:45]
	v_fma_f64 v[128:129], v[58:59], s[24:25], v[8:9]
	v_mul_f64 v[136:137], v[68:69], s[44:45]
	v_fma_f64 v[8:9], v[58:59], s[24:25], -v[8:9]
	v_mul_f64 v[44:45], v[44:45], s[26:27]
	v_add_f64 v[34:35], v[10:11], v[34:35]
	v_add_f64 v[36:37], v[14:15], v[36:37]
	;; [unrolled: 1-line block ×3, first 2 shown]
	v_fma_f64 v[10:11], v[56:57], s[12:13], -v[66:67]
	v_mul_f64 v[62:63], v[68:69], s[26:27]
	v_fma_f64 v[14:15], v[58:59], s[12:13], v[136:137]
	v_add_f64 v[42:43], v[8:9], v[42:43]
	v_fma_f64 v[8:9], v[56:57], s[12:13], v[66:67]
	v_add_f64 v[66:67], v[2:3], -v[54:55]
	v_fma_f64 v[134:135], v[56:57], s[24:25], v[134:135]
	v_add_f64 v[54:55], v[2:3], v[54:55]
	v_add_f64 v[40:41], v[10:11], v[40:41]
	v_fma_f64 v[10:11], v[58:59], s[12:13], -v[136:137]
	v_add_f64 v[50:51], v[14:15], v[50:51]
	v_add_f64 v[136:137], v[0:1], -v[52:53]
	v_add_f64 v[26:27], v[8:9], v[26:27]
	v_fma_f64 v[8:9], v[56:57], s[22:23], -v[44:45]
	v_fma_f64 v[14:15], v[58:59], s[22:23], v[62:63]
	v_add_f64 v[52:53], v[0:1], v[52:53]
	v_mul_f64 v[0:1], v[66:67], s[38:39]
	v_add_f64 v[28:29], v[10:11], v[28:29]
	v_fma_f64 v[10:11], v[56:57], s[22:23], v[44:45]
	v_mul_f64 v[2:3], v[136:137], s[38:39]
	v_add_f64 v[20:21], v[128:129], v[20:21]
	v_add_f64 v[44:45], v[8:9], v[64:65]
	;; [unrolled: 1-line block ×3, first 2 shown]
	v_fma_f64 v[8:9], v[58:59], s[22:23], -v[62:63]
	v_fma_f64 v[14:15], v[52:53], s[24:25], -v[0:1]
	v_mul_f64 v[58:59], v[66:67], s[44:45]
	v_mul_f64 v[62:63], v[136:137], s[44:45]
	v_fma_f64 v[64:65], v[54:55], s[24:25], v[2:3]
	v_fma_f64 v[0:1], v[52:53], s[24:25], v[0:1]
	v_add_f64 v[144:145], v[10:11], v[4:5]
	v_fma_f64 v[2:3], v[54:55], s[24:25], -v[2:3]
	v_add_f64 v[146:147], v[8:9], v[6:7]
	v_add_f64 v[8:9], v[14:15], v[46:47]
	v_mul_f64 v[46:47], v[66:67], s[36:37]
	v_fma_f64 v[4:5], v[52:53], s[12:13], -v[58:59]
	v_fma_f64 v[6:7], v[54:55], s[12:13], v[62:63]
	v_add_f64 v[10:11], v[64:65], v[48:49]
	v_add_f64 v[0:1], v[0:1], v[60:61]
	v_fma_f64 v[58:59], v[52:53], s[12:13], v[58:59]
	v_mul_f64 v[64:65], v[136:137], s[48:49]
	v_add_f64 v[2:3], v[2:3], v[12:13]
	v_fma_f64 v[60:61], v[52:53], s[20:21], -v[46:47]
	v_mul_f64 v[48:49], v[136:137], s[36:37]
	v_add_f64 v[12:13], v[4:5], v[130:131]
	v_add_f64 v[14:15], v[6:7], v[132:133]
	v_fma_f64 v[6:7], v[54:55], s[12:13], -v[62:63]
	v_mul_f64 v[62:63], v[66:67], s[48:49]
	v_add_f64 v[4:5], v[58:59], v[16:17]
	v_fma_f64 v[16:17], v[52:53], s[20:21], v[46:47]
	v_add_f64 v[132:133], v[60:61], v[30:31]
	v_fma_f64 v[30:31], v[54:55], s[16:17], v[64:65]
	;; [unrolled: 2-line block ×3, first 2 shown]
	v_add_f64 v[6:7], v[6:7], v[18:19]
	v_fma_f64 v[18:19], v[52:53], s[16:17], -v[62:63]
	v_add_f64 v[230:231], v[78:79], -v[122:123]
	v_add_f64 v[128:129], v[16:17], v[34:35]
	v_fma_f64 v[16:17], v[52:53], s[16:17], v[62:63]
	v_mul_f64 v[34:35], v[136:137], s[26:27]
	v_add_f64 v[70:71], v[30:31], v[20:21]
	v_mul_f64 v[30:31], v[66:67], s[40:41]
	v_add_f64 v[134:135], v[68:69], v[32:33]
	v_add_f64 v[68:69], v[18:19], v[38:39]
	v_add_f64 v[228:229], v[76:77], -v[120:121]
	v_fma_f64 v[46:47], v[54:55], s[20:21], -v[48:49]
	v_add_f64 v[16:17], v[16:17], v[22:23]
	v_fma_f64 v[22:23], v[54:55], s[22:23], v[34:35]
	v_fma_f64 v[34:35], v[54:55], s[22:23], -v[34:35]
	v_fma_f64 v[38:39], v[52:53], s[18:19], -v[30:31]
	v_fma_f64 v[30:31], v[52:53], s[18:19], v[30:31]
	v_mul_f64 v[32:33], v[66:67], s[26:27]
	v_add_f64 v[208:209], v[76:77], v[120:121]
	v_add_f64 v[130:131], v[46:47], v[36:37]
	v_mul_f64 v[36:37], v[136:137], s[40:41]
	v_add_f64 v[210:211], v[78:79], v[122:123]
	v_add_f64 v[138:139], v[34:35], v[28:29]
	v_mul_f64 v[28:29], v[230:231], s[34:35]
	v_add_f64 v[144:145], v[30:31], v[144:145]
	v_mul_f64 v[30:31], v[228:229], s[34:35]
	buffer_store_dword v28, off, s[52:55], 0 offset:320 ; 4-byte Folded Spill
	s_nop 0
	buffer_store_dword v29, off, s[52:55], 0 offset:324 ; 4-byte Folded Spill
	buffer_store_dword v30, off, s[52:55], 0 offset:336 ; 4-byte Folded Spill
	s_nop 0
	buffer_store_dword v31, off, s[52:55], 0 offset:340 ; 4-byte Folded Spill
	v_fma_f64 v[20:21], v[52:53], s[22:23], -v[32:33]
	v_fma_f64 v[32:33], v[52:53], s[22:23], v[32:33]
	v_add_f64 v[236:237], v[82:83], -v[118:119]
	v_fma_f64 v[18:19], v[54:55], s[16:17], -v[64:65]
	v_mul_f64 v[34:35], v[228:229], s[28:29]
	v_add_f64 v[140:141], v[38:39], v[44:45]
	v_add_f64 v[248:249], v[86:87], -v[114:115]
	v_add_f64 v[22:23], v[22:23], v[50:51]
	v_add_f64 v[20:21], v[20:21], v[40:41]
	v_fma_f64 v[40:41], v[54:55], s[18:19], v[36:37]
	v_add_f64 v[136:137], v[32:33], v[26:27]
	v_fma_f64 v[26:27], v[54:55], s[18:19], -v[36:37]
	v_mul_f64 v[32:33], v[230:231], s[28:29]
	v_mul_f64 v[36:37], v[230:231], s[30:31]
	v_add_f64 v[18:19], v[18:19], v[42:43]
	buffer_store_dword v32, off, s[52:55], 0 offset:352 ; 4-byte Folded Spill
	s_nop 0
	buffer_store_dword v33, off, s[52:55], 0 offset:356 ; 4-byte Folded Spill
	v_add_f64 v[142:143], v[40:41], v[56:57]
	v_add_f64 v[146:147], v[26:27], v[146:147]
	v_mul_f64 v[40:41], v[236:237], s[28:29]
	buffer_store_dword v34, off, s[52:55], 0 offset:472 ; 4-byte Folded Spill
	s_nop 0
	buffer_store_dword v35, off, s[52:55], 0 offset:476 ; 4-byte Folded Spill
	buffer_store_dword v36, off, s[52:55], 0 offset:368 ; 4-byte Folded Spill
	s_nop 0
	buffer_store_dword v37, off, s[52:55], 0 offset:372 ; 4-byte Folded Spill
	;; [unrolled: 3-line block ×3, first 2 shown]
	v_mul_f64 v[44:45], v[236:237], s[26:27]
	v_mul_f64 v[48:49], v[236:237], s[38:39]
	;; [unrolled: 1-line block ×3, first 2 shown]
	v_add_f64 v[204:205], v[80:81], v[116:117]
	v_add_f64 v[212:213], v[82:83], v[118:119]
	;; [unrolled: 1-line block ×3, first 2 shown]
	v_add_f64 v[244:245], v[84:85], -v[112:113]
	v_mul_f64 v[166:167], v[228:229], s[30:31]
	v_add_f64 v[216:217], v[86:87], v[114:115]
	v_mul_f64 v[160:161], v[248:249], s[46:47]
	v_add_f64 v[246:247], v[88:89], -v[108:109]
	v_add_f64 v[214:215], v[88:89], v[108:109]
	v_add_f64 v[218:219], v[90:91], v[110:111]
	v_add_f64 v[252:253], v[92:93], -v[104:105]
	v_mul_f64 v[158:159], v[244:245], s[38:39]
	v_fma_f64 v[38:39], v[210:211], s[18:19], -v[166:167]
	v_mul_f64 v[164:165], v[244:245], s[46:47]
	v_add_f64 v[222:223], v[94:95], v[106:107]
	v_mul_f64 v[156:157], v[246:247], s[26:27]
	v_mul_f64 v[66:67], v[246:247], s[42:43]
	v_add_f64 v[220:221], v[92:93], v[104:105]
	v_mul_f64 v[170:171], v[252:253], s[36:37]
	v_mul_f64 v[180:181], v[252:253], s[40:41]
	v_add_f64 v[38:39], v[74:75], v[38:39]
	v_add_f64 v[56:57], v[98:99], -v[102:103]
	v_mul_f64 v[184:185], v[246:247], s[44:45]
	v_add_f64 v[224:225], v[96:97], v[100:101]
	v_add_f64 v[226:227], v[98:99], v[102:103]
	v_mul_f64 v[192:193], v[252:253], s[28:29]
	v_mul_f64 v[196:197], v[230:231], s[26:27]
	;; [unrolled: 1-line block ×14, first 2 shown]
	v_fma_f64 v[26:27], v[208:209], s[12:13], v[28:29]
	v_fma_f64 v[28:29], v[210:211], s[12:13], -v[30:31]
	v_add_f64 v[30:31], v[80:81], -v[116:117]
	v_add_f64 v[26:27], v[72:73], v[26:27]
	v_add_f64 v[28:29], v[74:75], v[28:29]
	v_mul_f64 v[42:43], v[30:31], s[28:29]
	v_mul_f64 v[46:47], v[30:31], s[26:27]
	buffer_store_dword v42, off, s[52:55], 0 offset:376 ; 4-byte Folded Spill
	s_nop 0
	buffer_store_dword v43, off, s[52:55], 0 offset:380 ; 4-byte Folded Spill
	buffer_store_dword v44, off, s[52:55], 0 offset:408 ; 4-byte Folded Spill
	s_nop 0
	buffer_store_dword v45, off, s[52:55], 0 offset:412 ; 4-byte Folded Spill
	buffer_store_dword v46, off, s[52:55], 0 offset:440 ; 4-byte Folded Spill
	s_nop 0
	buffer_store_dword v47, off, s[52:55], 0 offset:444 ; 4-byte Folded Spill
	buffer_store_dword v48, off, s[52:55], 0 offset:496 ; 4-byte Folded Spill
	s_nop 0
	buffer_store_dword v49, off, s[52:55], 0 offset:500 ; 4-byte Folded Spill
	buffer_store_dword v50, off, s[52:55], 0 offset:424 ; 4-byte Folded Spill
	s_nop 0
	buffer_store_dword v51, off, s[52:55], 0 offset:428 ; 4-byte Folded Spill
	v_fma_f64 v[32:33], v[208:209], s[16:17], v[32:33]
	v_mul_f64 v[188:189], v[30:31], s[38:39]
	v_mul_f64 v[62:63], v[30:31], s[40:41]
	v_fma_f64 v[34:35], v[210:211], s[16:17], -v[34:35]
	v_fma_f64 v[36:37], v[208:209], s[18:19], v[36:37]
	v_add_f64 v[32:33], v[72:73], v[32:33]
	v_fma_f64 v[40:41], v[204:205], s[16:17], v[40:41]
	v_add_f64 v[34:35], v[74:75], v[34:35]
	v_add_f64 v[36:37], v[72:73], v[36:37]
	;; [unrolled: 1-line block ×3, first 2 shown]
	v_fma_f64 v[40:41], v[212:213], s[16:17], -v[42:43]
	v_fma_f64 v[42:43], v[204:205], s[22:23], v[44:45]
	v_fma_f64 v[44:45], v[212:213], s[22:23], -v[46:47]
	v_fma_f64 v[46:47], v[204:205], s[24:25], v[48:49]
	v_fma_f64 v[48:49], v[212:213], s[24:25], -v[188:189]
	v_add_f64 v[28:29], v[40:41], v[28:29]
	v_add_f64 v[32:33], v[42:43], v[32:33]
	;; [unrolled: 1-line block ×3, first 2 shown]
	v_fma_f64 v[34:35], v[206:207], s[18:19], v[50:51]
	v_mul_f64 v[42:43], v[244:245], s[30:31]
	v_mul_f64 v[44:45], v[248:249], s[38:39]
	buffer_store_dword v42, off, s[52:55], 0 offset:456 ; 4-byte Folded Spill
	s_nop 0
	buffer_store_dword v43, off, s[52:55], 0 offset:460 ; 4-byte Folded Spill
	v_add_f64 v[26:27], v[34:35], v[26:27]
	v_add_f64 v[34:35], v[90:91], -v[110:111]
	buffer_store_dword v44, off, s[52:55], 0 offset:488 ; 4-byte Folded Spill
	s_nop 0
	buffer_store_dword v45, off, s[52:55], 0 offset:492 ; 4-byte Folded Spill
	v_add_f64 v[36:37], v[46:47], v[36:37]
	v_add_f64 v[38:39], v[48:49], v[38:39]
	v_fma_f64 v[46:47], v[216:217], s[24:25], -v[158:159]
	v_fma_f64 v[48:49], v[206:207], s[22:23], v[160:161]
	v_fma_f64 v[50:51], v[216:217], s[22:23], -v[164:165]
	v_mul_f64 v[52:53], v[34:35], s[26:27]
	buffer_store_dword v52, off, s[52:55], 0 offset:504 ; 4-byte Folded Spill
	s_nop 0
	buffer_store_dword v53, off, s[52:55], 0 offset:508 ; 4-byte Folded Spill
	v_mul_f64 v[162:163], v[34:35], s[42:43]
	v_add_f64 v[36:37], v[48:49], v[36:37]
	v_mul_f64 v[174:175], v[34:35], s[44:45]
	v_add_f64 v[38:39], v[50:51], v[38:39]
	v_fma_f64 v[50:51], v[218:219], s[20:21], -v[66:67]
	v_mul_f64 v[232:233], v[34:35], s[30:31]
	v_fma_f64 v[48:49], v[214:215], s[20:21], v[162:163]
	v_fma_f64 v[42:43], v[216:217], s[18:19], -v[42:43]
	v_fma_f64 v[44:45], v[206:207], s[24:25], v[44:45]
	v_add_f64 v[28:29], v[42:43], v[28:29]
	v_add_f64 v[42:43], v[46:47], v[40:41]
	v_fma_f64 v[46:47], v[218:219], s[22:23], -v[156:157]
	v_add_f64 v[32:33], v[44:45], v[32:33]
	v_add_f64 v[40:41], v[94:95], -v[106:107]
	v_add_f64 v[42:43], v[50:51], v[42:43]
	v_fma_f64 v[44:45], v[214:215], s[22:23], v[52:53]
	v_add_f64 v[28:29], v[46:47], v[28:29]
	v_mul_f64 v[168:169], v[40:41], s[36:37]
	v_add_f64 v[32:33], v[48:49], v[32:33]
	v_fma_f64 v[48:49], v[222:223], s[20:21], -v[170:171]
	v_fma_f64 v[52:53], v[214:215], s[12:13], v[174:175]
	v_mul_f64 v[178:179], v[40:41], s[28:29]
	v_mul_f64 v[172:173], v[40:41], s[40:41]
	v_add_f64 v[26:27], v[44:45], v[26:27]
	v_fma_f64 v[44:45], v[218:219], s[12:13], -v[184:185]
	v_fma_f64 v[46:47], v[220:221], s[20:21], v[168:169]
	v_add_f64 v[28:29], v[48:49], v[28:29]
	v_add_f64 v[48:49], v[96:97], -v[100:101]
	v_add_f64 v[36:37], v[52:53], v[36:37]
	v_fma_f64 v[50:51], v[220:221], s[16:17], v[178:179]
	v_fma_f64 v[52:53], v[224:225], s[12:13], v[190:191]
	v_add_f64 v[38:39], v[44:45], v[38:39]
	v_add_f64 v[26:27], v[46:47], v[26:27]
	v_fma_f64 v[46:47], v[222:223], s[18:19], -v[180:181]
	v_fma_f64 v[44:45], v[220:221], s[18:19], v[172:173]
	v_mul_f64 v[186:187], v[48:49], s[38:39]
	v_mul_f64 v[194:195], v[48:49], s[44:45]
	v_add_f64 v[36:37], v[50:51], v[36:37]
	v_mul_f64 v[200:201], v[48:49], s[36:37]
	v_mul_f64 v[240:241], v[48:49], s[48:49]
	v_add_f64 v[42:43], v[46:47], v[42:43]
	v_fma_f64 v[46:47], v[224:225], s[24:25], v[182:183]
	v_fma_f64 v[50:51], v[226:227], s[24:25], -v[186:187]
	v_add_f64 v[32:33], v[44:45], v[32:33]
	v_fma_f64 v[54:55], v[226:227], s[12:13], -v[194:195]
	v_fma_f64 v[44:45], v[222:223], s[16:17], -v[192:193]
	v_add_f64 v[26:27], v[46:47], v[26:27]
	v_add_f64 v[28:29], v[50:51], v[28:29]
	buffer_store_dword v26, off, s[52:55], 0 offset:20 ; 4-byte Folded Spill
	s_nop 0
	buffer_store_dword v27, off, s[52:55], 0 offset:24 ; 4-byte Folded Spill
	buffer_store_dword v28, off, s[52:55], 0 offset:28 ; 4-byte Folded Spill
	;; [unrolled: 1-line block ×3, first 2 shown]
	v_add_f64 v[26:27], v[52:53], v[32:33]
	v_add_f64 v[28:29], v[54:55], v[42:43]
	buffer_store_dword v26, off, s[52:55], 0 offset:36 ; 4-byte Folded Spill
	s_nop 0
	buffer_store_dword v27, off, s[52:55], 0 offset:40 ; 4-byte Folded Spill
	buffer_store_dword v28, off, s[52:55], 0 offset:44 ; 4-byte Folded Spill
	;; [unrolled: 1-line block ×3, first 2 shown]
	v_add_f64 v[38:39], v[44:45], v[38:39]
	v_fma_f64 v[26:27], v[224:225], s[20:21], v[198:199]
	v_fma_f64 v[28:29], v[226:227], s[20:21], -v[200:201]
	v_fma_f64 v[44:45], v[208:209], s[22:23], v[196:197]
	v_mul_f64 v[32:33], v[30:31], s[42:43]
	v_mul_f64 v[50:51], v[230:231], s[36:37]
	;; [unrolled: 1-line block ×3, first 2 shown]
	v_add_f64 v[26:27], v[26:27], v[36:37]
	v_add_f64 v[28:29], v[28:29], v[38:39]
	;; [unrolled: 1-line block ×3, first 2 shown]
	v_fma_f64 v[44:45], v[210:211], s[22:23], -v[202:203]
	buffer_store_dword v26, off, s[52:55], 0 offset:52 ; 4-byte Folded Spill
	s_nop 0
	buffer_store_dword v27, off, s[52:55], 0 offset:56 ; 4-byte Folded Spill
	buffer_store_dword v28, off, s[52:55], 0 offset:60 ; 4-byte Folded Spill
	;; [unrolled: 1-line block ×3, first 2 shown]
	v_fma_f64 v[26:27], v[204:205], s[20:21], v[234:235]
	v_add_f64 v[28:29], v[74:75], v[44:45]
	v_fma_f64 v[36:37], v[212:213], s[20:21], -v[32:33]
	v_add_f64 v[26:27], v[26:27], v[42:43]
	v_add_f64 v[28:29], v[36:37], v[28:29]
	v_fma_f64 v[36:37], v[206:207], s[12:13], v[238:239]
	v_add_f64 v[26:27], v[36:37], v[26:27]
	v_fma_f64 v[36:37], v[216:217], s[12:13], -v[254:255]
	v_add_f64 v[28:29], v[36:37], v[28:29]
	v_fma_f64 v[36:37], v[214:215], s[18:19], v[232:233]
	v_add_f64 v[26:27], v[36:37], v[26:27]
	v_fma_f64 v[36:37], v[218:219], s[18:19], -v[250:251]
	v_add_f64 v[36:37], v[36:37], v[28:29]
	v_mul_f64 v[28:29], v[40:41], s[50:51]
	v_fma_f64 v[38:39], v[220:221], s[24:25], v[28:29]
	v_add_f64 v[38:39], v[38:39], v[26:27]
	v_fma_f64 v[26:27], v[222:223], s[24:25], -v[242:243]
	v_add_f64 v[36:37], v[26:27], v[36:37]
	v_mul_f64 v[26:27], v[56:57], s[48:49]
	v_fma_f64 v[42:43], v[224:225], s[16:17], v[26:27]
	v_add_f64 v[42:43], v[42:43], v[38:39]
	v_fma_f64 v[38:39], v[226:227], s[16:17], -v[240:241]
	v_add_f64 v[44:45], v[38:39], v[36:37]
	v_fma_f64 v[36:37], v[208:209], s[20:21], v[50:51]
	v_fma_f64 v[38:39], v[204:205], s[18:19], v[46:47]
	buffer_store_dword v42, off, s[52:55], 0 offset:68 ; 4-byte Folded Spill
	s_nop 0
	buffer_store_dword v43, off, s[52:55], 0 offset:72 ; 4-byte Folded Spill
	buffer_store_dword v44, off, s[52:55], 0 offset:76 ; 4-byte Folded Spill
	;; [unrolled: 1-line block ×3, first 2 shown]
	v_add_f64 v[36:37], v[72:73], v[36:37]
	v_fma_f64 v[42:43], v[212:213], s[18:19], -v[62:63]
	v_mul_f64 v[44:45], v[248:249], s[28:29]
	v_add_f64 v[36:37], v[38:39], v[36:37]
	v_fma_f64 v[38:39], v[210:211], s[20:21], -v[64:65]
	v_add_f64 v[38:39], v[74:75], v[38:39]
	v_add_f64 v[38:39], v[42:43], v[38:39]
	v_fma_f64 v[42:43], v[206:207], s[16:17], v[44:45]
	v_add_f64 v[36:37], v[42:43], v[36:37]
	v_fma_f64 v[42:43], v[216:217], s[16:17], -v[60:61]
	v_add_f64 v[42:43], v[42:43], v[38:39]
	v_mul_f64 v[38:39], v[34:35], s[50:51]
	v_fma_f64 v[52:53], v[214:215], s[24:25], v[38:39]
	v_add_f64 v[52:53], v[52:53], v[36:37]
	v_fma_f64 v[36:37], v[218:219], s[24:25], -v[58:59]
	v_add_f64 v[42:43], v[36:37], v[42:43]
	v_mul_f64 v[36:37], v[40:41], s[44:45]
	v_fma_f64 v[54:55], v[220:221], s[12:13], v[36:37]
	v_add_f64 v[52:53], v[54:55], v[52:53]
	v_mul_f64 v[54:55], v[252:253], s[44:45]
	v_fma_f64 v[148:149], v[222:223], s[12:13], -v[54:55]
	v_add_f64 v[148:149], v[148:149], v[42:43]
	v_mul_f64 v[42:43], v[56:57], s[26:27]
	v_fma_f64 v[150:151], v[224:225], s[22:23], v[42:43]
	v_add_f64 v[152:153], v[150:151], v[52:53]
	v_mul_f64 v[52:53], v[48:49], s[26:27]
	v_fma_f64 v[150:151], v[226:227], s[22:23], -v[52:53]
	v_add_f64 v[154:155], v[150:151], v[148:149]
	buffer_store_dword v152, off, s[52:55], 0 offset:84 ; 4-byte Folded Spill
	s_nop 0
	buffer_store_dword v153, off, s[52:55], 0 offset:88 ; 4-byte Folded Spill
	buffer_store_dword v154, off, s[52:55], 0 offset:92 ; 4-byte Folded Spill
	;; [unrolled: 1-line block ×3, first 2 shown]
	s_waitcnt lgkmcnt(0)
	; wave barrier
	s_waitcnt vmcnt(63) expcnt(7) lgkmcnt(15)
	buffer_load_dword v150, off, s[52:55], 0 offset:4 ; 4-byte Folded Reload
	v_mul_lo_u16_e32 v148, 13, v177
	v_mov_b32_e32 v149, v177
	s_waitcnt vmcnt(0)
	v_lshlrev_b32_e32 v152, 4, v150
	v_lshl_add_u32 v177, v148, 4, v152
	ds_write_b128 v177, v[124:127]
	ds_write_b128 v177, v[8:11] offset:16
	ds_write_b128 v177, v[12:15] offset:32
	;; [unrolled: 1-line block ×10, first 2 shown]
	v_add_co_u32_e64 v8, s[2:3], 13, v149
	buffer_store_dword v149, off, s[52:55], 0 ; 4-byte Folded Spill
	ds_write_b128 v177, v[4:7] offset:176
	ds_write_b128 v177, v[0:3] offset:192
	v_mul_u32_u24_e32 v0, 13, v8
	buffer_store_dword v0, off, s[52:55], 0 offset:316 ; 4-byte Folded Spill
	s_and_saveexec_b64 s[2:3], vcc
	s_cbranch_execz .LBB0_7
; %bb.6:
	v_mul_f64 v[4:5], v[210:211], s[24:25]
	v_mul_f64 v[6:7], v[212:213], s[12:13]
	;; [unrolled: 1-line block ×8, first 2 shown]
	v_fma_f64 v[0:1], v[228:229], s[50:51], v[4:5]
	v_fma_f64 v[2:3], v[30:31], s[34:35], v[6:7]
	;; [unrolled: 1-line block ×5, first 2 shown]
	v_fma_f64 v[8:9], v[208:209], s[24:25], -v[8:9]
	v_add_f64 v[68:69], v[202:203], v[68:69]
	v_add_f64 v[32:33], v[32:33], v[126:127]
	;; [unrolled: 1-line block ×3, first 2 shown]
	v_mul_f64 v[146:147], v[226:227], s[16:17]
	v_add_f64 v[12:13], v[72:73], v[12:13]
	v_add_f64 v[4:5], v[74:75], v[4:5]
	v_add_f64 v[132:133], v[132:133], -v[238:239]
	v_add_f64 v[8:9], v[72:73], v[8:9]
	v_add_f64 v[68:69], v[74:75], v[68:69]
	v_mul_f64 v[142:143], v[214:215], s[18:19]
	v_add_f64 v[0:1], v[2:3], v[0:1]
	v_fma_f64 v[2:3], v[204:205], s[12:13], v[10:11]
	v_fma_f64 v[10:11], v[204:205], s[12:13], -v[10:11]
	v_add_f64 v[4:5], v[6:7], v[4:5]
	v_mul_f64 v[6:7], v[210:211], s[20:21]
	v_add_f64 v[146:147], v[240:241], v[146:147]
	v_add_f64 v[32:33], v[32:33], v[68:69]
	v_mul_f64 v[202:203], v[220:221], s[24:25]
	v_add_f64 v[142:143], v[142:143], -v[232:233]
	v_add_f64 v[2:3], v[2:3], v[12:13]
	v_mul_f64 v[12:13], v[216:217], s[20:21]
	v_add_f64 v[8:9], v[10:11], v[8:9]
	v_add_f64 v[6:7], v[64:65], v[6:7]
	v_mul_f64 v[64:65], v[210:211], s[16:17]
	v_mul_f64 v[130:131], v[216:217], s[22:23]
	;; [unrolled: 1-line block ×5, first 2 shown]
	v_fma_f64 v[14:15], v[244:245], s[42:43], v[12:13]
	v_fma_f64 v[12:13], v[244:245], s[36:37], v[12:13]
	v_add_f64 v[6:7], v[74:75], v[6:7]
	v_mul_f64 v[68:69], v[218:219], s[22:23]
	v_mul_f64 v[134:135], v[214:215], s[22:23]
	;; [unrolled: 1-line block ×5, first 2 shown]
	v_add_f64 v[0:1], v[14:15], v[0:1]
	v_mul_f64 v[14:15], v[248:249], s[36:37]
	v_add_f64 v[4:5], v[12:13], v[4:5]
	v_mul_f64 v[12:13], v[208:209], s[16:17]
	v_mul_f64 v[144:145], v[220:221], s[20:21]
	;; [unrolled: 1-line block ×3, first 2 shown]
	v_fma_f64 v[16:17], v[206:207], s[20:21], v[14:15]
	v_fma_f64 v[10:11], v[206:207], s[20:21], -v[14:15]
	v_add_f64 v[2:3], v[16:17], v[2:3]
	v_mul_f64 v[16:17], v[218:219], s[16:17]
	v_add_f64 v[8:9], v[10:11], v[8:9]
	v_mul_f64 v[10:11], v[208:209], s[22:23]
	v_fma_f64 v[18:19], v[246:247], s[28:29], v[16:17]
	v_fma_f64 v[16:17], v[246:247], s[48:49], v[16:17]
	v_add_f64 v[10:11], v[10:11], -v[196:197]
	v_mul_f64 v[196:197], v[222:223], s[16:17]
	v_add_f64 v[0:1], v[18:19], v[0:1]
	v_mul_f64 v[18:19], v[34:35], s[48:49]
	v_add_f64 v[4:5], v[16:17], v[4:5]
	;; [unrolled: 2-line block ×3, first 2 shown]
	v_fma_f64 v[20:21], v[214:215], s[16:17], v[18:19]
	v_fma_f64 v[18:19], v[214:215], s[16:17], -v[18:19]
	v_add_f64 v[16:17], v[60:61], v[16:17]
	v_mul_f64 v[60:61], v[218:219], s[24:25]
	v_add_f64 v[2:3], v[20:21], v[2:3]
	v_mul_f64 v[20:21], v[222:223], s[22:23]
	v_add_f64 v[8:9], v[18:19], v[8:9]
	v_add_f64 v[58:59], v[58:59], v[60:61]
	v_mul_f64 v[18:19], v[212:213], s[16:17]
	v_mul_f64 v[60:61], v[204:205], s[22:23]
	v_fma_f64 v[22:23], v[252:253], s[46:47], v[20:21]
	v_fma_f64 v[14:15], v[252:253], s[26:27], v[20:21]
	v_mul_f64 v[20:21], v[208:209], s[18:19]
	v_add_f64 v[0:1], v[22:23], v[0:1]
	v_mul_f64 v[22:23], v[40:41], s[26:27]
	v_mul_f64 v[40:41], v[56:57], s[40:41]
	;; [unrolled: 1-line block ×3, first 2 shown]
	v_add_f64 v[4:5], v[14:15], v[4:5]
	v_mul_f64 v[14:15], v[222:223], s[12:13]
	v_fma_f64 v[34:35], v[220:221], s[22:23], v[22:23]
	v_fma_f64 v[22:23], v[220:221], s[22:23], -v[22:23]
	v_fma_f64 v[30:31], v[48:49], s[40:41], v[56:57]
	v_add_f64 v[14:15], v[54:55], v[14:15]
	v_mul_f64 v[54:55], v[226:227], s[22:23]
	v_add_f64 v[34:35], v[34:35], v[2:3]
	v_fma_f64 v[2:3], v[48:49], s[30:31], v[56:57]
	v_mul_f64 v[56:57], v[212:213], s[18:19]
	v_add_f64 v[124:125], v[22:23], v[8:9]
	v_add_f64 v[22:23], v[70:71], -v[50:51]
	v_add_f64 v[52:53], v[52:53], v[54:55]
	v_mul_f64 v[54:55], v[224:225], s[22:23]
	v_mul_f64 v[70:71], v[204:205], s[20:21]
	;; [unrolled: 1-line block ×4, first 2 shown]
	v_add_f64 v[56:57], v[62:63], v[56:57]
	v_mul_f64 v[62:63], v[210:211], s[18:19]
	v_add_f64 v[22:23], v[72:73], v[22:23]
	v_add_f64 v[2:3], v[2:3], v[0:1]
	v_add_f64 v[42:43], v[54:55], -v[42:43]
	v_mul_f64 v[54:55], v[220:221], s[12:13]
	v_fma_f64 v[0:1], v[224:225], s[18:19], v[40:41]
	v_mul_f64 v[48:49], v[210:211], s[12:13]
	v_add_f64 v[6:7], v[56:57], v[6:7]
	v_add_f64 v[62:63], v[166:167], v[62:63]
	v_mul_f64 v[56:57], v[204:205], s[16:17]
	v_mul_f64 v[210:211], v[226:227], s[20:21]
	;; [unrolled: 1-line block ×3, first 2 shown]
	v_add_f64 v[36:37], v[54:55], -v[36:37]
	v_mul_f64 v[54:55], v[218:219], s[18:19]
	v_add_f64 v[0:1], v[0:1], v[34:35]
	v_add_f64 v[6:7], v[16:17], v[6:7]
	v_mul_f64 v[16:17], v[204:205], s[18:19]
	v_mul_f64 v[34:35], v[208:209], s[12:13]
	;; [unrolled: 1-line block ×4, first 2 shown]
	v_fma_f64 v[40:41], v[224:225], s[18:19], -v[40:41]
	v_add_f64 v[54:55], v[250:251], v[54:55]
	v_add_f64 v[6:7], v[58:59], v[6:7]
	v_add_f64 v[16:17], v[16:17], -v[46:47]
	v_mul_f64 v[46:47], v[206:207], s[16:17]
	v_mul_f64 v[58:59], v[212:213], s[24:25]
	;; [unrolled: 1-line block ×3, first 2 shown]
	v_add_f64 v[14:15], v[14:15], v[6:7]
	v_mul_f64 v[6:7], v[214:215], s[24:25]
	v_add_f64 v[44:45], v[46:47], -v[44:45]
	v_add_f64 v[16:17], v[16:17], v[22:23]
	v_mul_f64 v[22:23], v[216:217], s[18:19]
	v_mul_f64 v[46:47], v[206:207], s[18:19]
	;; [unrolled: 1-line block ×3, first 2 shown]
	v_add_f64 v[6:7], v[6:7], -v[38:39]
	v_mul_f64 v[38:39], v[216:217], s[24:25]
	v_add_f64 v[16:17], v[44:45], v[16:17]
	v_mul_f64 v[44:45], v[216:217], s[12:13]
	v_add_f64 v[6:7], v[6:7], v[16:17]
	v_add_f64 v[44:45], v[254:255], v[44:45]
	v_mul_f64 v[16:17], v[214:215], s[20:21]
	v_add_f64 v[36:37], v[36:37], v[6:7]
	v_add_f64 v[6:7], v[70:71], -v[234:235]
	v_add_f64 v[32:33], v[44:45], v[32:33]
	v_mul_f64 v[44:45], v[222:223], s[24:25]
	v_mul_f64 v[70:71], v[222:223], s[20:21]
	v_add_f64 v[16:17], v[16:17], -v[162:163]
	v_add_f64 v[6:7], v[6:7], v[10:11]
	v_add_f64 v[10:11], v[52:53], v[14:15]
	v_add_f64 v[52:53], v[212:213], -v[26:27]
	buffer_load_dword v26, off, s[52:55], 0 offset:472 ; 4-byte Folded Reload
	buffer_load_dword v27, off, s[52:55], 0 offset:476 ; 4-byte Folded Reload
	v_add_f64 v[44:45], v[242:243], v[44:45]
	v_add_f64 v[32:33], v[54:55], v[32:33]
	v_mul_f64 v[54:55], v[220:221], s[18:19]
	v_add_f64 v[132:133], v[132:133], v[6:7]
	v_add_f64 v[6:7], v[30:31], v[4:5]
	v_add_f64 v[30:31], v[188:189], v[58:59]
	v_add_f64 v[4:5], v[202:203], -v[28:29]
	v_add_f64 v[58:59], v[74:75], v[78:79]
	v_add_f64 v[32:33], v[44:45], v[32:33]
	v_mul_f64 v[44:45], v[226:227], s[24:25]
	v_add_f64 v[28:29], v[142:143], v[132:133]
	v_add_f64 v[14:15], v[146:147], v[32:33]
	;; [unrolled: 1-line block ×10, first 2 shown]
	s_waitcnt vmcnt(0)
	v_add_f64 v[26:27], v[26:27], v[64:65]
	buffer_load_dword v64, off, s[52:55], 0 offset:368 ; 4-byte Folded Reload
	buffer_load_dword v65, off, s[52:55], 0 offset:372 ; 4-byte Folded Reload
	;; [unrolled: 1-line block ×4, first 2 shown]
	v_add_f64 v[26:27], v[74:75], v[26:27]
	s_waitcnt vmcnt(2)
	v_add_f64 v[20:21], v[20:21], -v[64:65]
	buffer_load_dword v64, off, s[52:55], 0 offset:496 ; 4-byte Folded Reload
	buffer_load_dword v65, off, s[52:55], 0 offset:500 ; 4-byte Folded Reload
	s_waitcnt vmcnt(2)
	v_add_f64 v[8:9], v[32:33], v[8:9]
	v_add_f64 v[32:33], v[58:59], v[82:83]
	;; [unrolled: 1-line block ×9, first 2 shown]
	v_add_f64 v[58:59], v[126:127], -v[160:161]
	v_add_f64 v[62:63], v[138:139], -v[174:175]
	v_add_f64 v[8:9], v[30:31], v[8:9]
	v_add_f64 v[26:27], v[26:27], v[90:91]
	;; [unrolled: 1-line block ×20, first 2 shown]
	s_waitcnt vmcnt(0)
	v_add_f64 v[50:51], v[50:51], -v[64:65]
	buffer_load_dword v64, off, s[52:55], 0 offset:336 ; 4-byte Folded Reload
	buffer_load_dword v65, off, s[52:55], 0 offset:340 ; 4-byte Folded Reload
	v_add_f64 v[30:31], v[30:31], v[120:121]
	v_add_f64 v[20:21], v[50:51], v[20:21]
	;; [unrolled: 1-line block ×5, first 2 shown]
	v_add_f64 v[58:59], v[150:151], -v[178:179]
	v_add_f64 v[50:51], v[166:167], -v[198:199]
	v_add_f64 v[20:21], v[62:63], v[20:21]
	v_add_f64 v[8:9], v[38:39], v[8:9]
	buffer_load_dword v38, off, s[52:55], 0 offset:320 ; 4-byte Folded Reload
	buffer_load_dword v39, off, s[52:55], 0 offset:324 ; 4-byte Folded Reload
	v_add_f64 v[62:63], v[194:195], v[208:209]
	s_waitcnt vmcnt(2)
	v_add_f64 v[48:49], v[64:65], v[48:49]
	v_add_f64 v[48:49], v[74:75], v[48:49]
	s_waitcnt vmcnt(0)
	v_add_f64 v[34:35], v[34:35], -v[38:39]
	buffer_load_dword v38, off, s[52:55], 0 offset:352 ; 4-byte Folded Reload
	buffer_load_dword v39, off, s[52:55], 0 offset:356 ; 4-byte Folded Reload
	v_add_f64 v[34:35], v[72:73], v[34:35]
	s_waitcnt vmcnt(0)
	v_add_f64 v[12:13], v[12:13], -v[38:39]
	buffer_load_dword v38, off, s[52:55], 0 offset:408 ; 4-byte Folded Reload
	buffer_load_dword v39, off, s[52:55], 0 offset:412 ; 4-byte Folded Reload
	;; [unrolled: 5-line block ×3, first 2 shown]
	v_add_f64 v[12:13], v[38:39], v[12:13]
	v_add_f64 v[38:39], v[156:157], v[68:69]
	s_waitcnt vmcnt(0)
	v_add_f64 v[18:19], v[60:61], v[18:19]
	buffer_load_dword v60, off, s[52:55], 0 offset:360 ; 4-byte Folded Reload
	buffer_load_dword v61, off, s[52:55], 0 offset:364 ; 4-byte Folded Reload
	v_add_f64 v[18:19], v[18:19], v[48:49]
	s_waitcnt vmcnt(0)
	v_add_f64 v[56:57], v[56:57], -v[60:61]
	buffer_load_dword v60, off, s[52:55], 0 offset:488 ; 4-byte Folded Reload
	buffer_load_dword v61, off, s[52:55], 0 offset:492 ; 4-byte Folded Reload
	buffer_load_dword v64, off, s[52:55], 0 offset:456 ; 4-byte Folded Reload
	buffer_load_dword v65, off, s[52:55], 0 offset:460 ; 4-byte Folded Reload
	buffer_load_dword v48, off, s[52:55], 0 offset:424 ; 4-byte Folded Reload
	buffer_load_dword v49, off, s[52:55], 0 offset:428 ; 4-byte Folded Reload
	v_add_f64 v[34:35], v[56:57], v[34:35]
	s_waitcnt vmcnt(4)
	v_add_f64 v[60:61], v[128:129], -v[60:61]
	s_waitcnt vmcnt(2)
	v_add_f64 v[22:23], v[64:65], v[22:23]
	s_waitcnt vmcnt(0)
	v_add_f64 v[46:47], v[46:47], -v[48:49]
	v_add_f64 v[48:49], v[170:171], v[70:71]
	v_add_f64 v[12:13], v[60:61], v[12:13]
	;; [unrolled: 1-line block ×3, first 2 shown]
	buffer_load_dword v22, off, s[52:55], 0 offset:504 ; 4-byte Folded Reload
	buffer_load_dword v23, off, s[52:55], 0 offset:508 ; 4-byte Folded Reload
	v_add_f64 v[34:35], v[46:47], v[34:35]
	v_add_f64 v[46:47], v[54:55], -v[172:173]
	v_add_f64 v[12:13], v[16:17], v[12:13]
	v_add_f64 v[18:19], v[38:39], v[18:19]
	v_add_f64 v[38:39], v[144:145], -v[168:169]
	v_add_f64 v[16:17], v[206:207], -v[190:191]
	v_add_f64 v[12:13], v[46:47], v[12:13]
	v_add_f64 v[46:47], v[58:59], v[20:21]
	v_add_f64 v[20:21], v[16:17], v[12:13]
	v_add_f64 v[16:17], v[50:51], v[46:47]
	v_add_f64 v[12:13], v[52:53], v[4:5]
	v_add_f64 v[4:5], v[40:41], v[124:125]
	s_waitcnt vmcnt(0)
	v_add_f64 v[22:23], v[134:135], -v[22:23]
	v_add_f64 v[22:23], v[22:23], v[34:35]
	v_add_f64 v[34:35], v[186:187], v[44:45]
	;; [unrolled: 1-line block ×4, first 2 shown]
	v_add_f64 v[48:49], v[204:205], -v[182:183]
	v_add_f64 v[32:33], v[26:27], v[122:123]
	v_add_f64 v[38:39], v[38:39], v[22:23]
	;; [unrolled: 1-line block ×4, first 2 shown]
	buffer_load_dword v34, off, s[52:55], 0 offset:316 ; 4-byte Folded Reload
	v_add_f64 v[8:9], v[42:43], v[36:37]
	v_add_f64 v[26:27], v[48:49], v[38:39]
	s_waitcnt vmcnt(0)
	v_lshl_add_u32 v34, v34, 4, v152
	ds_write_b128 v34, v[30:33]
	ds_write_b128 v34, v[26:29] offset:16
	ds_write_b128 v34, v[20:23] offset:32
	;; [unrolled: 1-line block ×7, first 2 shown]
	buffer_load_dword v0, off, s[52:55], 0 offset:84 ; 4-byte Folded Reload
	buffer_load_dword v1, off, s[52:55], 0 offset:88 ; 4-byte Folded Reload
	buffer_load_dword v2, off, s[52:55], 0 offset:92 ; 4-byte Folded Reload
	buffer_load_dword v3, off, s[52:55], 0 offset:96 ; 4-byte Folded Reload
	s_waitcnt vmcnt(0)
	ds_write_b128 v34, v[0:3] offset:128
	buffer_load_dword v0, off, s[52:55], 0 offset:68 ; 4-byte Folded Reload
	buffer_load_dword v1, off, s[52:55], 0 offset:72 ; 4-byte Folded Reload
	buffer_load_dword v2, off, s[52:55], 0 offset:76 ; 4-byte Folded Reload
	buffer_load_dword v3, off, s[52:55], 0 offset:80 ; 4-byte Folded Reload
	s_waitcnt vmcnt(0)
	ds_write_b128 v34, v[0:3] offset:144
	;; [unrolled: 6-line block ×5, first 2 shown]
.LBB0_7:
	s_or_b64 exec, exec, s[2:3]
	v_mov_b32_e32 v0, s15
	v_addc_co_u32_e64 v41, s[0:1], 0, v0, s[0:1]
	s_waitcnt lgkmcnt(0)
	; wave barrier
	s_waitcnt lgkmcnt(0)
	ds_read_b128 v[8:11], v176
	ds_read_b128 v[16:19], v176 offset:1456
	ds_read_b128 v[20:23], v176 offset:2912
	;; [unrolled: 1-line block ×20, first 2 shown]
	buffer_load_dword v80, off, s[52:55], 0 ; 4-byte Folded Reload
	s_movk_i32 s0, 0x4f
	v_mov_b32_e32 v81, v152
	s_mov_b32 s3, 0xbfebb67a
	s_mov_b32 s12, 0xe976ee23
	;; [unrolled: 1-line block ×15, first 2 shown]
	s_waitcnt vmcnt(0)
	v_lshlrev_b32_e32 v38, 5, v80
	global_load_dwordx4 v[72:75], v38, s[4:5] offset:16
	global_load_dwordx4 v[76:79], v38, s[4:5]
	s_waitcnt vmcnt(0) lgkmcnt(14)
	v_mul_f64 v[38:39], v[18:19], v[78:79]
	v_fma_f64 v[170:171], v[16:17], v[76:77], -v[38:39]
	v_mul_f64 v[16:17], v[16:17], v[78:79]
	v_fma_f64 v[172:173], v[18:19], v[76:77], v[16:17]
	v_mul_f64 v[16:17], v[22:23], v[74:75]
	v_fma_f64 v[174:175], v[20:21], v[72:73], -v[16:17]
	v_mul_f64 v[16:17], v[20:21], v[74:75]
	v_fma_f64 v[38:39], v[22:23], v[72:73], v[16:17]
	v_mul_f64 v[16:17], v[28:29], v[78:79]
	v_fma_f64 v[156:157], v[26:27], v[76:77], -v[16:17]
	v_mul_f64 v[16:17], v[26:27], v[78:79]
	v_fma_f64 v[160:161], v[28:29], v[76:77], v[16:17]
	v_mul_f64 v[16:17], v[32:33], v[74:75]
	v_fma_f64 v[162:163], v[30:31], v[72:73], -v[16:17]
	v_mul_f64 v[16:17], v[30:31], v[74:75]
	v_fma_f64 v[164:165], v[32:33], v[72:73], v[16:17]
	v_add_u16_e32 v16, 26, v80
	v_mul_lo_u16_sdwa v17, v16, s0 dst_sel:DWORD dst_unused:UNUSED_PAD src0_sel:BYTE_0 src1_sel:DWORD
	v_lshrrev_b16_e32 v17, 10, v17
	v_mul_lo_u16_e32 v17, 13, v17
	v_sub_u16_e32 v32, v16, v17
	v_lshlrev_b16_e32 v16, 1, v32
	v_and_b32_e32 v16, 0xfe, v16
	v_lshlrev_b32_e32 v16, 4, v16
	global_load_dwordx4 v[88:91], v16, s[4:5] offset:16
	global_load_dwordx4 v[92:95], v16, s[4:5]
	s_waitcnt vmcnt(0) lgkmcnt(13)
	v_mul_f64 v[16:17], v[36:37], v[94:95]
	v_fma_f64 v[150:151], v[34:35], v[92:93], -v[16:17]
	v_mul_f64 v[16:17], v[34:35], v[94:95]
	v_fma_f64 v[152:153], v[36:37], v[92:93], v[16:17]
	s_waitcnt lgkmcnt(12)
	v_mul_f64 v[16:17], v[44:45], v[90:91]
	v_add_u16_e32 v36, 0x4e, v80
	v_mul_lo_u16_sdwa v37, v36, s0 dst_sel:DWORD dst_unused:UNUSED_PAD src0_sel:BYTE_0 src1_sel:DWORD
	v_lshrrev_b16_e32 v37, 10, v37
	v_mul_lo_u16_e32 v37, 13, v37
	v_sub_u16_e32 v40, v36, v37
	v_lshlrev_b16_e32 v36, 1, v40
	v_and_b32_e32 v36, 0xfe, v36
	v_fma_f64 v[154:155], v[42:43], v[88:89], -v[16:17]
	v_mul_f64 v[16:17], v[42:43], v[90:91]
	v_lshlrev_b32_e32 v36, 4, v36
	v_fma_f64 v[158:159], v[44:45], v[88:89], v[16:17]
	v_add_u16_e32 v16, 39, v80
	v_mul_lo_u16_sdwa v17, v16, s0 dst_sel:DWORD dst_unused:UNUSED_PAD src0_sel:BYTE_0 src1_sel:DWORD
	v_lshrrev_b16_e32 v17, 10, v17
	v_mul_lo_u16_e32 v17, 13, v17
	v_sub_u16_e32 v33, v16, v17
	v_lshlrev_b16_e32 v16, 1, v33
	v_and_b32_e32 v16, 0xfe, v16
	v_lshlrev_b32_e32 v16, 4, v16
	global_load_dwordx4 v[96:99], v16, s[4:5] offset:16
	global_load_dwordx4 v[100:103], v16, s[4:5]
	s_waitcnt vmcnt(0) lgkmcnt(10)
	v_mul_f64 v[16:17], v[48:49], v[102:103]
	v_fma_f64 v[26:27], v[46:47], v[100:101], -v[16:17]
	v_mul_f64 v[16:17], v[46:47], v[102:103]
	v_fma_f64 v[28:29], v[48:49], v[100:101], v[16:17]
	s_waitcnt lgkmcnt(9)
	v_mul_f64 v[16:17], v[52:53], v[98:99]
	v_fma_f64 v[30:31], v[50:51], v[96:97], -v[16:17]
	v_mul_f64 v[16:17], v[50:51], v[98:99]
	v_fma_f64 v[148:149], v[52:53], v[96:97], v[16:17]
	v_add_u16_e32 v16, 52, v80
	v_mul_lo_u16_sdwa v17, v16, s0 dst_sel:DWORD dst_unused:UNUSED_PAD src0_sel:BYTE_0 src1_sel:DWORD
	v_lshrrev_b16_e32 v17, 10, v17
	v_mul_lo_u16_e32 v17, 13, v17
	v_sub_u16_e32 v34, v16, v17
	v_lshlrev_b16_e32 v16, 1, v34
	v_and_b32_e32 v16, 0xfe, v16
	v_lshlrev_b32_e32 v16, 4, v16
	global_load_dwordx4 v[104:107], v16, s[4:5] offset:16
	global_load_dwordx4 v[108:111], v16, s[4:5]
	v_add_f64 v[52:53], v[152:153], -v[158:159]
	s_waitcnt vmcnt(0) lgkmcnt(7)
	v_mul_f64 v[16:17], v[56:57], v[110:111]
	v_fma_f64 v[140:141], v[54:55], v[108:109], -v[16:17]
	v_mul_f64 v[16:17], v[54:55], v[110:111]
	v_fma_f64 v[142:143], v[56:57], v[108:109], v[16:17]
	s_waitcnt lgkmcnt(6)
	v_mul_f64 v[16:17], v[60:61], v[106:107]
	v_fma_f64 v[144:145], v[58:59], v[104:105], -v[16:17]
	v_mul_f64 v[16:17], v[58:59], v[106:107]
	v_add_f64 v[58:59], v[150:151], -v[154:155]
	v_fma_f64 v[146:147], v[60:61], v[104:105], v[16:17]
	v_add_u16_e32 v16, 0x41, v80
	v_mul_lo_u16_sdwa v17, v16, s0 dst_sel:DWORD dst_unused:UNUSED_PAD src0_sel:BYTE_0 src1_sel:DWORD
	v_lshrrev_b16_e32 v17, 10, v17
	v_mul_lo_u16_e32 v17, 13, v17
	v_sub_u16_e32 v35, v16, v17
	v_lshlrev_b16_e32 v16, 1, v35
	v_and_b32_e32 v16, 0xfe, v16
	v_lshlrev_b32_e32 v16, 4, v16
	global_load_dwordx4 v[112:115], v16, s[4:5] offset:16
	global_load_dwordx4 v[116:119], v16, s[4:5]
	global_load_dwordx4 v[42:45], v36, s[4:5] offset:16
	global_load_dwordx4 v[46:49], v36, s[4:5]
	v_add_f64 v[60:61], v[26:27], v[30:31]
	s_mov_b32 s0, 0xe8584caa
	s_mov_b32 s1, 0x3febb67a
	;; [unrolled: 1-line block ×3, first 2 shown]
	v_fma_f64 v[60:61], v[60:61], -0.5, v[128:129]
	s_waitcnt vmcnt(3) lgkmcnt(3)
	v_mul_f64 v[20:21], v[68:69], v[114:115]
	s_waitcnt vmcnt(2)
	v_mul_f64 v[18:19], v[62:63], v[118:119]
	s_waitcnt vmcnt(0) lgkmcnt(1)
	v_mul_f64 v[36:37], v[138:139], v[48:49]
	v_mul_f64 v[16:17], v[64:65], v[118:119]
	;; [unrolled: 1-line block ×3, first 2 shown]
	v_fma_f64 v[20:21], v[66:67], v[112:113], -v[20:21]
	v_fma_f64 v[18:19], v[64:65], v[116:117], v[18:19]
	v_fma_f64 v[166:167], v[136:137], v[46:47], -v[36:37]
	v_mul_f64 v[36:37], v[136:137], v[48:49]
	buffer_store_dword v46, off, s[52:55], 0 offset:336 ; 4-byte Folded Spill
	s_nop 0
	buffer_store_dword v47, off, s[52:55], 0 offset:340 ; 4-byte Folded Spill
	buffer_store_dword v48, off, s[52:55], 0 offset:344 ; 4-byte Folded Spill
	;; [unrolled: 1-line block ×3, first 2 shown]
	v_add_f64 v[48:49], v[150:151], v[154:155]
	v_add_f64 v[64:65], v[28:29], -v[148:149]
	v_fma_f64 v[16:17], v[62:63], v[116:117], -v[16:17]
	v_fma_f64 v[22:23], v[68:69], v[112:113], v[22:23]
	v_fma_f64 v[48:49], v[48:49], -0.5, v[132:133]
	v_fma_f64 v[62:63], v[64:65], s[0:1], v[60:61]
	v_fma_f64 v[66:67], v[64:65], s[2:3], v[60:61]
	v_add_f64 v[60:61], v[130:131], v[28:29]
	v_add_f64 v[28:29], v[28:29], v[148:149]
	v_fma_f64 v[50:51], v[52:53], s[0:1], v[48:49]
	v_fma_f64 v[54:55], v[52:53], s[2:3], v[48:49]
	v_add_f64 v[52:53], v[152:153], v[158:159]
	v_add_f64 v[48:49], v[134:135], v[152:153]
	v_fma_f64 v[28:29], v[28:29], -0.5, v[130:131]
	v_add_f64 v[130:131], v[140:141], -v[144:145]
	v_add_f64 v[60:61], v[60:61], v[148:149]
	v_fma_f64 v[56:57], v[52:53], -0.5, v[134:135]
	v_add_f64 v[134:135], v[18:19], -v[22:23]
	v_add_f64 v[48:49], v[48:49], v[158:159]
	v_fma_f64 v[52:53], v[58:59], s[2:3], v[56:57]
	v_fma_f64 v[56:57], v[58:59], s[0:1], v[56:57]
	v_add_f64 v[58:59], v[128:129], v[26:27]
	v_add_f64 v[26:27], v[26:27], -v[30:31]
	v_add_f64 v[58:59], v[58:59], v[30:31]
	v_fma_f64 v[64:65], v[26:27], s[2:3], v[28:29]
	v_fma_f64 v[68:69], v[26:27], s[0:1], v[28:29]
	v_add_f64 v[28:29], v[140:141], v[144:145]
	v_add_f64 v[30:31], v[142:143], -v[146:147]
	v_add_f64 v[26:27], v[0:1], v[140:141]
	v_fma_f64 v[28:29], v[28:29], -0.5, v[0:1]
	v_add_f64 v[26:27], v[26:27], v[144:145]
	v_fma_f64 v[0:1], v[30:31], s[0:1], v[28:29]
	v_fma_f64 v[128:129], v[30:31], s[2:3], v[28:29]
	v_add_f64 v[30:31], v[142:143], v[146:147]
	v_add_f64 v[28:29], v[2:3], v[142:143]
	v_fma_f64 v[30:31], v[30:31], -0.5, v[2:3]
	v_add_f64 v[28:29], v[28:29], v[146:147]
	v_fma_f64 v[70:71], v[138:139], v[46:47], v[36:37]
	s_waitcnt lgkmcnt(0)
	v_mul_f64 v[36:37], v[14:15], v[44:45]
	v_add_f64 v[46:47], v[156:157], -v[162:163]
	v_fma_f64 v[2:3], v[130:131], s[2:3], v[30:31]
	v_fma_f64 v[130:131], v[130:131], s[0:1], v[30:31]
	v_add_f64 v[30:31], v[124:125], v[16:17]
	v_fma_f64 v[168:169], v[12:13], v[42:43], -v[36:37]
	v_mul_f64 v[12:13], v[12:13], v[44:45]
	buffer_store_dword v42, off, s[52:55], 0 offset:320 ; 4-byte Folded Spill
	s_nop 0
	buffer_store_dword v43, off, s[52:55], 0 offset:324 ; 4-byte Folded Spill
	buffer_store_dword v44, off, s[52:55], 0 offset:328 ; 4-byte Folded Spill
	;; [unrolled: 1-line block ×3, first 2 shown]
	v_add_f64 v[36:37], v[172:173], v[38:39]
	v_add_f64 v[44:45], v[160:161], v[164:165]
	s_waitcnt lgkmcnt(0)
	; wave barrier
	v_fma_f64 v[44:45], v[44:45], -0.5, v[6:7]
	v_fma_f64 v[178:179], v[14:15], v[42:43], v[12:13]
	v_add_f64 v[14:15], v[170:171], v[174:175]
	v_add_f64 v[12:13], v[8:9], v[170:171]
	v_add_f64 v[42:43], v[160:161], -v[164:165]
	v_fma_f64 v[8:9], v[14:15], -0.5, v[8:9]
	v_add_f64 v[14:15], v[172:173], -v[38:39]
	v_add_f64 v[12:13], v[12:13], v[174:175]
	v_fma_f64 v[136:137], v[14:15], s[0:1], v[8:9]
	v_fma_f64 v[8:9], v[14:15], s[2:3], v[8:9]
	v_add_f64 v[14:15], v[10:11], v[172:173]
	v_fma_f64 v[10:11], v[36:37], -0.5, v[10:11]
	v_add_f64 v[36:37], v[170:171], -v[174:175]
	v_add_f64 v[14:15], v[14:15], v[38:39]
	v_add_f64 v[38:39], v[156:157], v[162:163]
	v_fma_f64 v[138:139], v[36:37], s[2:3], v[10:11]
	v_fma_f64 v[10:11], v[36:37], s[0:1], v[10:11]
	v_add_f64 v[36:37], v[4:5], v[156:157]
	v_fma_f64 v[38:39], v[38:39], -0.5, v[4:5]
	v_add_f64 v[36:37], v[36:37], v[162:163]
	v_fma_f64 v[4:5], v[42:43], s[0:1], v[38:39]
	v_fma_f64 v[42:43], v[42:43], s[2:3], v[38:39]
	v_add_f64 v[38:39], v[6:7], v[160:161]
	v_fma_f64 v[6:7], v[46:47], s[2:3], v[44:45]
	v_fma_f64 v[44:45], v[46:47], s[0:1], v[44:45]
	v_add_f64 v[46:47], v[132:133], v[150:151]
	v_add_f64 v[132:133], v[30:31], v[20:21]
	;; [unrolled: 1-line block ×3, first 2 shown]
	v_add_f64 v[16:17], v[16:17], -v[20:21]
	v_add_f64 v[38:39], v[38:39], v[164:165]
	ds_write_b128 v176, v[12:15]
	ds_write_b128 v176, v[136:139] offset:208
	ds_write_b128 v176, v[8:11] offset:416
	;; [unrolled: 1-line block ×5, first 2 shown]
	v_fma_f64 v[30:31], v[30:31], -0.5, v[124:125]
	v_add_f64 v[46:47], v[46:47], v[154:155]
	v_and_b32_e32 v4, 0xff, v32
	v_lshl_add_u32 v4, v4, 4, v81
	ds_write_b128 v4, v[46:49] offset:1248
	ds_write_b128 v4, v[50:53] offset:1456
	v_fma_f64 v[124:125], v[134:135], s[0:1], v[30:31]
	v_fma_f64 v[140:141], v[134:135], s[2:3], v[30:31]
	v_add_f64 v[30:31], v[126:127], v[18:19]
	v_add_f64 v[18:19], v[18:19], v[22:23]
	buffer_store_dword v4, off, s[52:55], 0 offset:352 ; 4-byte Folded Spill
	ds_write_b128 v4, v[54:57] offset:1664
	v_and_b32_e32 v4, 0xff, v33
	v_lshl_add_u32 v4, v4, 4, v81
	ds_write_b128 v4, v[58:61] offset:1872
	ds_write_b128 v4, v[62:65] offset:2080
	buffer_store_dword v4, off, s[52:55], 0 offset:360 ; 4-byte Folded Spill
	v_add_f64 v[134:135], v[30:31], v[22:23]
	v_fma_f64 v[18:19], v[18:19], -0.5, v[126:127]
	v_add_f64 v[22:23], v[70:71], -v[178:179]
	ds_write_b128 v4, v[66:69] offset:2288
	v_and_b32_e32 v4, 0xff, v34
	v_lshl_add_u32 v4, v4, 4, v81
	ds_write_b128 v4, v[26:29] offset:2496
	ds_write_b128 v4, v[0:3] offset:2704
	v_mov_b32_e32 v27, s5
	v_mov_b32_e32 v26, s4
	v_fma_f64 v[126:127], v[16:17], s[2:3], v[18:19]
	v_fma_f64 v[142:143], v[16:17], s[0:1], v[18:19]
	v_add_f64 v[18:19], v[166:167], v[168:169]
	v_add_f64 v[16:17], v[120:121], v[166:167]
	v_and_b32_e32 v0, 0xff, v35
	ds_write_b128 v4, v[128:131] offset:2912
	v_lshl_add_u32 v128, v0, 4, v81
	v_and_b32_e32 v0, 0xff, v40
	v_lshl_add_u32 v40, v0, 4, v81
	buffer_store_dword v4, off, s[52:55], 0 offset:368 ; 4-byte Folded Spill
	v_fma_f64 v[18:19], v[18:19], -0.5, v[120:121]
	v_add_f64 v[16:17], v[16:17], v[168:169]
	ds_write_b128 v128, v[132:135] offset:3120
	ds_write_b128 v128, v[124:127] offset:3328
	;; [unrolled: 1-line block ×3, first 2 shown]
	s_mov_b32 s4, 0x429ad128
	s_mov_b32 s5, 0x3febfeb5
	v_fma_f64 v[20:21], v[22:23], s[0:1], v[18:19]
	v_fma_f64 v[120:121], v[22:23], s[2:3], v[18:19]
	v_add_f64 v[22:23], v[70:71], v[178:179]
	v_add_f64 v[18:19], v[122:123], v[70:71]
	v_add_f64 v[70:71], v[166:167], -v[168:169]
	v_fma_f64 v[30:31], v[22:23], -0.5, v[122:123]
	v_add_f64 v[18:19], v[18:19], v[178:179]
	v_fma_f64 v[22:23], v[70:71], s[2:3], v[30:31]
	v_fma_f64 v[122:123], v[70:71], s[0:1], v[30:31]
	s_movk_i32 s0, 0x60
	v_mad_u64_u32 v[70:71], s[0:1], v80, s0, v[26:27]
	ds_write_b128 v40, v[16:19] offset:3744
	ds_write_b128 v40, v[20:23] offset:3952
	;; [unrolled: 1-line block ×3, first 2 shown]
	s_waitcnt lgkmcnt(0)
	; wave barrier
	s_waitcnt lgkmcnt(0)
	ds_read_b128 v[192:195], v176
	ds_read_b128 v[16:19], v176 offset:624
	ds_read_b128 v[20:23], v176 offset:1248
	;; [unrolled: 1-line block ×20, first 2 shown]
	global_load_dwordx4 v[120:123], v[70:71], off offset:464
	global_load_dwordx4 v[124:127], v[70:71], off offset:448
	;; [unrolled: 1-line block ×6, first 2 shown]
	s_mov_b32 s2, 0x37e14327
	s_mov_b32 s0, 0x36b3c0b5
	;; [unrolled: 1-line block ×4, first 2 shown]
	s_waitcnt vmcnt(2) lgkmcnt(14)
	v_mul_f64 v[26:27], v[18:19], v[139:140]
	v_fma_f64 v[26:27], v[16:17], v[137:138], -v[26:27]
	v_mul_f64 v[16:17], v[16:17], v[139:140]
	v_fma_f64 v[222:223], v[18:19], v[137:138], v[16:17]
	v_mul_f64 v[16:17], v[22:23], v[131:132]
	v_fma_f64 v[28:29], v[20:21], v[129:130], -v[16:17]
	v_mul_f64 v[16:17], v[20:21], v[131:132]
	global_load_dwordx4 v[141:144], v[70:71], off offset:1712
	global_load_dwordx4 v[145:148], v[70:71], off offset:1696
	;; [unrolled: 1-line block ×4, first 2 shown]
	v_fma_f64 v[224:225], v[22:23], v[129:130], v[16:17]
	v_mul_f64 v[16:17], v[34:35], v[126:127]
	v_fma_f64 v[30:31], v[32:33], v[124:125], -v[16:17]
	v_mul_f64 v[16:17], v[32:33], v[126:127]
	v_fma_f64 v[226:227], v[34:35], v[124:125], v[16:17]
	v_mul_f64 v[16:17], v[44:45], v[122:123]
	v_fma_f64 v[228:229], v[42:43], v[120:121], -v[16:17]
	v_mul_f64 v[16:17], v[42:43], v[122:123]
	v_fma_f64 v[230:231], v[44:45], v[120:121], v[16:17]
	s_waitcnt vmcnt(4)
	v_mul_f64 v[16:17], v[48:49], v[162:163]
	v_fma_f64 v[42:43], v[46:47], v[160:161], -v[16:17]
	v_mul_f64 v[16:17], v[46:47], v[162:163]
	v_fma_f64 v[44:45], v[48:49], v[160:161], v[16:17]
	v_mul_f64 v[16:17], v[52:53], v[135:136]
	v_fma_f64 v[46:47], v[50:51], v[133:134], -v[16:17]
	v_mul_f64 v[16:17], v[50:51], v[135:136]
	v_fma_f64 v[48:49], v[52:53], v[133:134], v[16:17]
	s_waitcnt vmcnt(0) lgkmcnt(12)
	v_mul_f64 v[16:17], v[56:57], v[20:21]
	v_fma_f64 v[206:207], v[54:55], v[18:19], -v[16:17]
	v_mul_f64 v[16:17], v[54:55], v[20:21]
	buffer_store_dword v18, off, s[52:55], 0 offset:376 ; 4-byte Folded Spill
	s_nop 0
	buffer_store_dword v19, off, s[52:55], 0 offset:380 ; 4-byte Folded Spill
	buffer_store_dword v20, off, s[52:55], 0 offset:384 ; 4-byte Folded Spill
	;; [unrolled: 1-line block ×3, first 2 shown]
	global_load_dwordx4 v[164:167], v[70:71], off offset:1744
	global_load_dwordx4 v[32:35], v[70:71], off offset:1728
	v_fma_f64 v[212:213], v[56:57], v[18:19], v[16:17]
	s_waitcnt lgkmcnt(11)
	v_mul_f64 v[16:17], v[60:61], v[151:152]
	v_fma_f64 v[208:209], v[58:59], v[149:150], -v[16:17]
	v_mul_f64 v[16:17], v[58:59], v[151:152]
	v_fma_f64 v[214:215], v[60:61], v[149:150], v[16:17]
	s_waitcnt lgkmcnt(10)
	v_mul_f64 v[16:17], v[64:65], v[147:148]
	v_fma_f64 v[210:211], v[62:63], v[145:146], -v[16:17]
	v_mul_f64 v[16:17], v[62:63], v[147:148]
	;; [unrolled: 5-line block ×3, first 2 shown]
	v_fma_f64 v[220:221], v[68:69], v[141:142], v[16:17]
	s_waitcnt vmcnt(0) lgkmcnt(8)
	v_mul_f64 v[16:17], v[170:171], v[34:35]
	v_fma_f64 v[232:233], v[168:169], v[32:33], -v[16:17]
	v_mul_f64 v[16:17], v[168:169], v[34:35]
	v_fma_f64 v[234:235], v[170:171], v[32:33], v[16:17]
	s_waitcnt lgkmcnt(7)
	v_mul_f64 v[16:17], v[174:175], v[166:167]
	v_fma_f64 v[236:237], v[172:173], v[164:165], -v[16:17]
	v_mul_f64 v[16:17], v[172:173], v[166:167]
	v_fma_f64 v[238:239], v[174:175], v[164:165], v[16:17]
	global_load_dwordx4 v[168:171], v[70:71], off offset:2960
	global_load_dwordx4 v[172:175], v[70:71], off offset:2944
	global_load_dwordx4 v[180:183], v[70:71], off offset:2928
	global_load_dwordx4 v[184:187], v[70:71], off offset:2912
	s_waitcnt vmcnt(2) lgkmcnt(3)
	v_mul_f64 v[50:51], v[156:157], v[174:175]
	s_waitcnt vmcnt(1)
	v_mul_f64 v[20:21], v[188:189], v[182:183]
	s_waitcnt vmcnt(0)
	v_mul_f64 v[16:17], v[202:203], v[186:187]
	v_mul_f64 v[18:19], v[200:201], v[186:187]
	v_fma_f64 v[16:17], v[200:201], v[184:185], -v[16:17]
	v_fma_f64 v[22:23], v[202:203], v[184:185], v[18:19]
	v_mul_f64 v[18:19], v[190:191], v[182:183]
	v_fma_f64 v[200:201], v[190:191], v[180:181], v[20:21]
	v_mul_f64 v[20:21], v[158:159], v[174:175]
	v_fma_f64 v[202:203], v[158:159], v[172:173], v[50:51]
	s_waitcnt lgkmcnt(2)
	v_mul_f64 v[50:51], v[14:15], v[170:171]
	v_fma_f64 v[18:19], v[188:189], v[180:181], -v[18:19]
	v_fma_f64 v[20:21], v[156:157], v[172:173], -v[20:21]
	global_load_dwordx4 v[153:156], v[70:71], off offset:2992
	global_load_dwordx4 v[188:191], v[70:71], off offset:2976
	v_fma_f64 v[204:205], v[12:13], v[168:169], -v[50:51]
	v_mul_f64 v[12:13], v[12:13], v[170:171]
	v_add_f64 v[50:51], v[230:231], -v[226:227]
	v_fma_f64 v[12:13], v[14:15], v[168:169], v[12:13]
	s_waitcnt vmcnt(0) lgkmcnt(1)
	v_mul_f64 v[14:15], v[10:11], v[190:191]
	v_fma_f64 v[14:15], v[8:9], v[188:189], -v[14:15]
	v_mul_f64 v[8:9], v[8:9], v[190:191]
	v_fma_f64 v[70:71], v[10:11], v[188:189], v[8:9]
	s_waitcnt lgkmcnt(0)
	v_mul_f64 v[8:9], v[6:7], v[155:156]
	v_add_f64 v[10:11], v[222:223], -v[48:49]
	v_fma_f64 v[178:179], v[4:5], v[153:154], -v[8:9]
	v_mul_f64 v[4:5], v[4:5], v[155:156]
	v_add_f64 v[8:9], v[26:27], -v[46:47]
	v_fma_f64 v[240:241], v[6:7], v[153:154], v[4:5]
	v_add_f64 v[4:5], v[26:27], v[46:47]
	v_add_f64 v[6:7], v[222:223], v[48:49]
	v_add_f64 v[26:27], v[28:29], v[42:43]
	v_add_f64 v[46:47], v[224:225], v[44:45]
	v_add_f64 v[28:29], v[28:29], -v[42:43]
	v_add_f64 v[42:43], v[224:225], -v[44:45]
	v_add_f64 v[44:45], v[30:31], v[228:229]
	v_add_f64 v[48:49], v[226:227], v[230:231]
	v_add_f64 v[30:31], v[228:229], -v[30:31]
	v_add_f64 v[52:53], v[26:27], v[4:5]
	v_add_f64 v[54:55], v[46:47], v[6:7]
	v_add_f64 v[56:57], v[26:27], -v[4:5]
	v_add_f64 v[58:59], v[46:47], -v[6:7]
	;; [unrolled: 1-line block ×6, first 2 shown]
	v_add_f64 v[4:5], v[30:31], v[28:29]
	v_add_f64 v[6:7], v[50:51], v[42:43]
	v_add_f64 v[64:65], v[30:31], -v[28:29]
	v_add_f64 v[66:67], v[50:51], -v[42:43]
	;; [unrolled: 1-line block ×4, first 2 shown]
	v_add_f64 v[44:45], v[44:45], v[52:53]
	v_add_f64 v[48:49], v[48:49], v[54:55]
	v_add_f64 v[30:31], v[8:9], -v[30:31]
	v_add_f64 v[50:51], v[10:11], -v[50:51]
	v_add_f64 v[8:9], v[4:5], v[8:9]
	v_add_f64 v[10:11], v[6:7], v[10:11]
	v_mul_f64 v[52:53], v[60:61], s[2:3]
	v_mul_f64 v[54:55], v[62:63], s[2:3]
	v_add_f64 v[4:5], v[192:193], v[44:45]
	v_add_f64 v[6:7], v[194:195], v[48:49]
	v_mul_f64 v[60:61], v[26:27], s[0:1]
	v_mul_f64 v[62:63], v[46:47], s[0:1]
	;; [unrolled: 1-line block ×6, first 2 shown]
	v_fma_f64 v[44:45], v[44:45], s[14:15], v[4:5]
	v_fma_f64 v[48:49], v[48:49], s[14:15], v[6:7]
	;; [unrolled: 1-line block ×4, first 2 shown]
	v_fma_f64 v[60:61], v[56:57], s[16:17], -v[60:61]
	v_fma_f64 v[62:63], v[58:59], s[16:17], -v[62:63]
	;; [unrolled: 1-line block ×4, first 2 shown]
	v_fma_f64 v[56:57], v[30:31], s[22:23], v[64:65]
	v_fma_f64 v[58:59], v[50:51], s[22:23], v[66:67]
	v_fma_f64 v[30:31], v[30:31], s[24:25], -v[68:69]
	v_fma_f64 v[50:51], v[50:51], s[24:25], -v[192:193]
	;; [unrolled: 1-line block ×4, first 2 shown]
	v_add_f64 v[64:65], v[26:27], v[44:45]
	v_add_f64 v[66:67], v[46:47], v[48:49]
	;; [unrolled: 1-line block ×4, first 2 shown]
	v_fma_f64 v[56:57], v[8:9], s[18:19], v[56:57]
	v_fma_f64 v[58:59], v[10:11], s[18:19], v[58:59]
	;; [unrolled: 1-line block ×4, first 2 shown]
	v_add_f64 v[46:47], v[60:61], v[44:45]
	v_add_f64 v[60:61], v[62:63], v[48:49]
	v_fma_f64 v[48:49], v[8:9], s[18:19], v[28:29]
	v_fma_f64 v[62:63], v[10:11], s[18:19], v[42:43]
	v_add_f64 v[10:11], v[66:67], -v[56:57]
	v_add_f64 v[8:9], v[58:59], v[64:65]
	v_add_f64 v[28:29], v[54:55], -v[30:31]
	v_add_f64 v[26:27], v[50:51], v[52:53]
	;; [unrolled: 2-line block ×4, first 2 shown]
	v_add_f64 v[30:31], v[206:207], v[236:237]
	v_add_f64 v[58:59], v[212:213], v[238:239]
	;; [unrolled: 1-line block ×4, first 2 shown]
	v_add_f64 v[42:43], v[46:47], -v[62:63]
	v_add_f64 v[44:45], v[48:49], v[60:61]
	v_add_f64 v[46:47], v[62:63], v[46:47]
	v_add_f64 v[48:49], v[60:61], -v[48:49]
	v_add_f64 v[60:61], v[206:207], -v[236:237]
	;; [unrolled: 1-line block ×5, first 2 shown]
	v_add_f64 v[194:195], v[210:211], v[218:219]
	v_add_f64 v[206:207], v[216:217], v[220:221]
	v_add_f64 v[208:209], v[218:219], -v[210:211]
	v_add_f64 v[210:211], v[220:221], -v[216:217]
	v_add_f64 v[212:213], v[64:65], v[30:31]
	v_add_f64 v[214:215], v[66:67], v[58:59]
	v_add_f64 v[216:217], v[64:65], -v[30:31]
	v_add_f64 v[218:219], v[66:67], -v[58:59]
	;; [unrolled: 1-line block ×6, first 2 shown]
	v_add_f64 v[220:221], v[208:209], v[68:69]
	v_add_f64 v[222:223], v[210:211], v[192:193]
	v_add_f64 v[224:225], v[208:209], -v[68:69]
	v_add_f64 v[226:227], v[210:211], -v[192:193]
	;; [unrolled: 1-line block ×4, first 2 shown]
	v_add_f64 v[194:195], v[194:195], v[212:213]
	v_add_f64 v[206:207], v[206:207], v[214:215]
	v_add_f64 v[208:209], v[60:61], -v[208:209]
	v_add_f64 v[210:211], v[62:63], -v[210:211]
	v_add_f64 v[60:61], v[220:221], v[60:61]
	v_add_f64 v[62:63], v[222:223], v[62:63]
	v_mul_f64 v[30:31], v[30:31], s[2:3]
	v_mul_f64 v[58:59], v[58:59], s[2:3]
	v_add_f64 v[0:1], v[0:1], v[194:195]
	v_add_f64 v[2:3], v[2:3], v[206:207]
	v_mul_f64 v[212:213], v[64:65], s[0:1]
	v_mul_f64 v[214:215], v[66:67], s[0:1]
	;; [unrolled: 1-line block ×6, first 2 shown]
	v_fma_f64 v[194:195], v[194:195], s[14:15], v[0:1]
	v_fma_f64 v[206:207], v[206:207], s[14:15], v[2:3]
	;; [unrolled: 1-line block ×4, first 2 shown]
	v_fma_f64 v[212:213], v[216:217], s[16:17], -v[212:213]
	v_fma_f64 v[214:215], v[218:219], s[16:17], -v[214:215]
	;; [unrolled: 1-line block ×4, first 2 shown]
	v_fma_f64 v[216:217], v[208:209], s[22:23], v[220:221]
	v_fma_f64 v[218:219], v[210:211], s[22:23], v[222:223]
	v_fma_f64 v[68:69], v[68:69], s[4:5], -v[220:221]
	v_fma_f64 v[192:193], v[192:193], s[4:5], -v[222:223]
	;; [unrolled: 1-line block ×4, first 2 shown]
	v_add_f64 v[220:221], v[64:65], v[194:195]
	v_add_f64 v[222:223], v[66:67], v[206:207]
	;; [unrolled: 1-line block ×6, first 2 shown]
	v_fma_f64 v[206:207], v[60:61], s[18:19], v[216:217]
	v_fma_f64 v[216:217], v[62:63], s[18:19], v[218:219]
	;; [unrolled: 1-line block ×6, first 2 shown]
	v_add_f64 v[60:61], v[222:223], -v[206:207]
	v_add_f64 v[58:59], v[216:217], v[220:221]
	v_add_f64 v[68:69], v[218:219], v[214:215]
	v_add_f64 v[66:67], v[212:213], -v[192:193]
	v_add_f64 v[64:65], v[194:195], -v[208:209]
	v_add_f64 v[62:63], v[210:211], v[30:31]
	v_add_f64 v[224:225], v[192:193], v[212:213]
	v_add_f64 v[226:227], v[214:215], -v[218:219]
	v_add_f64 v[228:229], v[30:31], -v[210:211]
	v_add_f64 v[230:231], v[208:209], v[194:195]
	v_add_f64 v[192:193], v[220:221], -v[216:217]
	v_add_f64 v[194:195], v[206:207], v[222:223]
	ds_write_b128 v176, v[4:7]
	ds_write_b128 v176, v[8:11] offset:624
	ds_write_b128 v176, v[26:29] offset:1248
	;; [unrolled: 1-line block ×13, first 2 shown]
	buffer_load_dword v0, off, s[52:55], 0 offset:392 ; 4-byte Folded Reload
	buffer_load_dword v1, off, s[52:55], 0 offset:4 ; 4-byte Folded Reload
	v_add_f64 v[30:31], v[16:17], v[178:179]
	v_add_f64 v[206:207], v[22:23], v[240:241]
	v_add_f64 v[16:17], v[16:17], -v[178:179]
	v_add_f64 v[178:179], v[18:19], v[14:15]
	v_add_f64 v[208:209], v[200:201], v[70:71]
	v_add_f64 v[14:15], v[18:19], -v[14:15]
	v_add_f64 v[18:19], v[200:201], -v[70:71]
	v_add_f64 v[70:71], v[20:21], v[204:205]
	v_add_f64 v[200:201], v[202:203], v[12:13]
	v_add_f64 v[20:21], v[204:205], -v[20:21]
	;; [unrolled: 4-line block ×3, first 2 shown]
	v_add_f64 v[210:211], v[178:179], -v[30:31]
	v_add_f64 v[212:213], v[208:209], -v[206:207]
	;; [unrolled: 1-line block ×6, first 2 shown]
	v_add_f64 v[214:215], v[20:21], v[14:15]
	v_add_f64 v[216:217], v[12:13], v[18:19]
	v_add_f64 v[218:219], v[20:21], -v[14:15]
	v_add_f64 v[220:221], v[12:13], -v[18:19]
	v_add_f64 v[70:71], v[70:71], v[202:203]
	v_add_f64 v[200:201], v[200:201], v[204:205]
	v_add_f64 v[14:15], v[14:15], -v[16:17]
	v_add_f64 v[18:19], v[18:19], -v[22:23]
	;; [unrolled: 1-line block ×4, first 2 shown]
	v_add_f64 v[16:17], v[214:215], v[16:17]
	v_add_f64 v[22:23], v[216:217], v[22:23]
	;; [unrolled: 1-line block ×4, first 2 shown]
	v_mul_f64 v[30:31], v[30:31], s[2:3]
	v_mul_f64 v[202:203], v[206:207], s[2:3]
	;; [unrolled: 1-line block ×8, first 2 shown]
	v_fma_f64 v[70:71], v[70:71], s[14:15], v[196:197]
	v_fma_f64 v[200:201], v[200:201], s[14:15], v[198:199]
	;; [unrolled: 1-line block ×4, first 2 shown]
	v_fma_f64 v[204:205], v[210:211], s[16:17], -v[204:205]
	v_fma_f64 v[206:207], v[212:213], s[16:17], -v[206:207]
	;; [unrolled: 1-line block ×4, first 2 shown]
	v_fma_f64 v[210:211], v[20:21], s[22:23], v[214:215]
	v_fma_f64 v[212:213], v[12:13], s[22:23], v[216:217]
	v_fma_f64 v[14:15], v[14:15], s[4:5], -v[214:215]
	v_fma_f64 v[20:21], v[20:21], s[24:25], -v[218:219]
	;; [unrolled: 1-line block ×4, first 2 shown]
	v_add_f64 v[178:179], v[178:179], v[70:71]
	v_add_f64 v[222:223], v[208:209], v[200:201]
	v_fma_f64 v[232:233], v[16:17], s[18:19], v[210:211]
	v_fma_f64 v[220:221], v[22:23], s[18:19], v[212:213]
	v_add_f64 v[214:215], v[204:205], v[70:71]
	v_add_f64 v[30:31], v[30:31], v[70:71]
	;; [unrolled: 1-line block ×3, first 2 shown]
	v_fma_f64 v[14:15], v[16:17], s[18:19], v[14:15]
	v_fma_f64 v[16:17], v[16:17], s[18:19], v[20:21]
	;; [unrolled: 1-line block ×3, first 2 shown]
	v_add_f64 v[216:217], v[206:207], v[200:201]
	v_fma_f64 v[18:19], v[22:23], s[18:19], v[18:19]
	v_add_f64 v[200:201], v[220:221], v[178:179]
	v_add_f64 v[202:203], v[222:223], -v[232:233]
	s_movk_i32 s0, 0x1110
	s_movk_i32 s4, 0x1000
	v_add_f64 v[206:207], v[70:71], -v[16:17]
	v_add_f64 v[204:205], v[12:13], v[30:31]
	v_add_f64 v[210:211], v[14:15], v[216:217]
	v_add_f64 v[208:209], v[214:215], -v[18:19]
	v_add_f64 v[212:213], v[18:19], v[214:215]
	v_add_f64 v[214:215], v[216:217], -v[14:15]
	v_add_f64 v[216:217], v[30:31], -v[12:13]
	s_waitcnt vmcnt(0)
	v_lshl_add_u32 v26, v1, 4, v0
	v_add_co_u32_e64 v0, s[0:1], s0, v24
	v_add_f64 v[218:219], v[16:17], v[70:71]
	v_addc_co_u32_e64 v1, s[0:1], 0, v41, s[0:1]
	v_add_f64 v[220:221], v[178:179], -v[220:221]
	v_add_f64 v[222:223], v[232:233], v[222:223]
	v_add_co_u32_e64 v6, s[0:1], s4, v24
	v_addc_co_u32_e64 v7, s[0:1], 0, v41, s[0:1]
	ds_write_b128 v176, v[196:199] offset:416
	ds_write_b128 v26, v[200:203] offset:1040
	;; [unrolled: 1-line block ×7, first 2 shown]
	s_waitcnt lgkmcnt(0)
	; wave barrier
	s_waitcnt lgkmcnt(0)
	global_load_dwordx4 v[6:9], v[6:7], off offset:272
	ds_read_b128 v[2:5], v176
	s_waitcnt vmcnt(0) lgkmcnt(0)
	v_mul_f64 v[10:11], v[4:5], v[8:9]
	v_fma_f64 v[10:11], v[2:3], v[6:7], -v[10:11]
	v_mul_f64 v[2:3], v[2:3], v[8:9]
	v_fma_f64 v[12:13], v[4:5], v[6:7], v[2:3]
	global_load_dwordx4 v[6:9], v[0:1], off offset:336
	ds_read_b128 v[2:5], v176 offset:336
	ds_write_b128 v176, v[10:13]
	s_waitcnt vmcnt(0) lgkmcnt(1)
	v_mul_f64 v[10:11], v[4:5], v[8:9]
	v_fma_f64 v[10:11], v[2:3], v[6:7], -v[10:11]
	v_mul_f64 v[2:3], v[2:3], v[8:9]
	v_fma_f64 v[12:13], v[4:5], v[6:7], v[2:3]
	global_load_dwordx4 v[6:9], v[0:1], off offset:672
	ds_read_b128 v[2:5], v176 offset:672
	ds_write_b128 v176, v[10:13] offset:336
	s_waitcnt vmcnt(0) lgkmcnt(1)
	v_mul_f64 v[10:11], v[4:5], v[8:9]
	v_fma_f64 v[10:11], v[2:3], v[6:7], -v[10:11]
	v_mul_f64 v[2:3], v[2:3], v[8:9]
	v_fma_f64 v[12:13], v[4:5], v[6:7], v[2:3]
	global_load_dwordx4 v[6:9], v[0:1], off offset:1008
	ds_read_b128 v[2:5], v176 offset:1008
	ds_write_b128 v176, v[10:13] offset:672
	;; [unrolled: 8-line block ×11, first 2 shown]
	s_waitcnt vmcnt(0) lgkmcnt(1)
	v_mul_f64 v[10:11], v[4:5], v[8:9]
	v_fma_f64 v[10:11], v[2:3], v[6:7], -v[10:11]
	v_mul_f64 v[2:3], v[2:3], v[8:9]
	v_fma_f64 v[12:13], v[4:5], v[6:7], v[2:3]
	ds_write_b128 v176, v[10:13] offset:4032
	s_mov_b64 s[2:3], exec
	s_and_b64 s[0:1], s[2:3], vcc
	v_mov_b32_e32 v71, v81
	s_mov_b64 exec, s[0:1]
	s_cbranch_execz .LBB0_9
; %bb.8:
	global_load_dwordx4 v[6:9], v[0:1], off offset:208
	ds_read_b128 v[2:5], v176 offset:208
	s_waitcnt vmcnt(0) lgkmcnt(0)
	v_mul_f64 v[10:11], v[4:5], v[8:9]
	v_fma_f64 v[10:11], v[2:3], v[6:7], -v[10:11]
	v_mul_f64 v[2:3], v[2:3], v[8:9]
	v_fma_f64 v[12:13], v[4:5], v[6:7], v[2:3]
	global_load_dwordx4 v[6:9], v[0:1], off offset:544
	ds_read_b128 v[2:5], v176 offset:544
	ds_write_b128 v176, v[10:13] offset:208
	s_waitcnt vmcnt(0) lgkmcnt(1)
	v_mul_f64 v[10:11], v[4:5], v[8:9]
	v_fma_f64 v[10:11], v[2:3], v[6:7], -v[10:11]
	v_mul_f64 v[2:3], v[2:3], v[8:9]
	v_fma_f64 v[12:13], v[4:5], v[6:7], v[2:3]
	global_load_dwordx4 v[6:9], v[0:1], off offset:880
	ds_read_b128 v[2:5], v176 offset:880
	ds_write_b128 v176, v[10:13] offset:544
	;; [unrolled: 8-line block ×10, first 2 shown]
	s_waitcnt vmcnt(0) lgkmcnt(1)
	v_mul_f64 v[10:11], v[4:5], v[8:9]
	v_fma_f64 v[10:11], v[2:3], v[6:7], -v[10:11]
	v_mul_f64 v[2:3], v[2:3], v[8:9]
	v_fma_f64 v[12:13], v[4:5], v[6:7], v[2:3]
	global_load_dwordx4 v[6:9], v[0:1], off offset:3904
	ds_read_b128 v[2:5], v176 offset:3904
	v_add_co_u32_e64 v0, s[0:1], s4, v0
	v_addc_co_u32_e64 v1, s[0:1], 0, v1, s[0:1]
	ds_write_b128 v176, v[10:13] offset:3568
	s_waitcnt vmcnt(0) lgkmcnt(1)
	v_mul_f64 v[10:11], v[4:5], v[8:9]
	v_fma_f64 v[10:11], v[2:3], v[6:7], -v[10:11]
	v_mul_f64 v[2:3], v[2:3], v[8:9]
	v_fma_f64 v[12:13], v[4:5], v[6:7], v[2:3]
	global_load_dwordx4 v[6:9], v[0:1], off offset:144
	ds_read_b128 v[2:5], v176 offset:4240
	ds_write_b128 v176, v[10:13] offset:3904
	s_waitcnt vmcnt(0) lgkmcnt(1)
	v_mul_f64 v[0:1], v[4:5], v[8:9]
	v_fma_f64 v[0:1], v[2:3], v[6:7], -v[0:1]
	v_mul_f64 v[2:3], v[2:3], v[8:9]
	v_fma_f64 v[2:3], v[4:5], v[6:7], v[2:3]
	ds_write_b128 v176, v[0:3] offset:4240
.LBB0_9:
	s_or_b64 exec, exec, s[2:3]
	s_waitcnt lgkmcnt(0)
	; wave barrier
	s_waitcnt lgkmcnt(0)
	ds_read_b128 v[12:15], v176
	ds_read_b128 v[16:19], v176 offset:336
	ds_read_b128 v[4:7], v176 offset:672
	;; [unrolled: 1-line block ×12, first 2 shown]
	s_and_saveexec_b64 s[0:1], vcc
	s_cbranch_execz .LBB0_11
; %bb.10:
	buffer_load_dword v27, off, s[52:55], 0 ; 4-byte Folded Reload
	s_waitcnt vmcnt(0)
	v_lshl_add_u32 v27, v27, 4, v71
	ds_read_b128 v[192:195], v176 offset:208
	ds_read_b128 v[196:199], v27 offset:544
	;; [unrolled: 1-line block ×9, first 2 shown]
	s_waitcnt lgkmcnt(0)
	buffer_store_dword v28, off, s[52:55], 0 offset:84 ; 4-byte Folded Spill
	s_nop 0
	buffer_store_dword v29, off, s[52:55], 0 offset:88 ; 4-byte Folded Spill
	buffer_store_dword v30, off, s[52:55], 0 offset:92 ; 4-byte Folded Spill
	buffer_store_dword v31, off, s[52:55], 0 offset:96 ; 4-byte Folded Spill
	ds_read_b128 v[28:31], v27 offset:3232
	s_waitcnt lgkmcnt(0)
	buffer_store_dword v28, off, s[52:55], 0 offset:68 ; 4-byte Folded Spill
	s_nop 0
	buffer_store_dword v29, off, s[52:55], 0 offset:72 ; 4-byte Folded Spill
	buffer_store_dword v30, off, s[52:55], 0 offset:76 ; 4-byte Folded Spill
	buffer_store_dword v31, off, s[52:55], 0 offset:80 ; 4-byte Folded Spill
	ds_read_b128 v[28:31], v27 offset:3568
	;; [unrolled: 7-line block ×4, first 2 shown]
	s_waitcnt lgkmcnt(0)
	buffer_store_dword v27, off, s[52:55], 0 offset:20 ; 4-byte Folded Spill
	s_nop 0
	buffer_store_dword v28, off, s[52:55], 0 offset:24 ; 4-byte Folded Spill
	buffer_store_dword v29, off, s[52:55], 0 offset:28 ; 4-byte Folded Spill
	;; [unrolled: 1-line block ×3, first 2 shown]
.LBB0_11:
	s_or_b64 exec, exec, s[0:1]
	s_waitcnt lgkmcnt(11)
	v_add_f64 v[28:29], v[14:15], v[18:19]
	v_add_u32_e32 v157, 0x1a0, v26
	v_add_f64 v[26:27], v[12:13], v[16:17]
	s_mov_b32 s2, 0x4267c47c
	s_mov_b32 s12, 0x42a4c3d2
	s_mov_b32 s16, 0x66966769
	s_mov_b32 s20, 0x2ef20147
	s_mov_b32 s26, 0x24c2f84
	s_waitcnt lgkmcnt(10)
	v_add_f64 v[28:29], v[28:29], v[6:7]
	s_mov_b32 s34, 0x4bc48dbf
	v_add_f64 v[26:27], v[26:27], v[4:5]
	s_mov_b32 s3, 0xbfddbe06
	s_mov_b32 s13, 0xbfea55e2
	s_mov_b32 s17, 0xbfefc445
	s_mov_b32 s21, 0xbfedeba7
	s_mov_b32 s27, 0xbfe5384d
	s_waitcnt lgkmcnt(9)
	v_add_f64 v[28:29], v[28:29], v[254:255]
	s_mov_b32 s35, 0xbfcea1e5
	;; [unrolled: 9-line block ×6, first 2 shown]
	v_add_f64 v[26:27], v[26:27], v[228:229]
	s_waitcnt lgkmcnt(0)
	; wave barrier
	s_waitcnt lgkmcnt(0)
	v_add_f64 v[28:29], v[28:29], v[242:243]
	v_add_f64 v[26:27], v[26:27], v[240:241]
	;; [unrolled: 1-line block ×10, first 2 shown]
	v_add_f64 v[18:19], v[18:19], -v[22:23]
	v_add_f64 v[80:81], v[26:27], v[20:21]
	v_add_f64 v[26:27], v[16:17], v[20:21]
	v_add_f64 v[16:17], v[16:17], -v[20:21]
	v_mul_f64 v[41:42], v[28:29], s[0:1]
	v_mul_f64 v[20:21], v[18:19], s[2:3]
	;; [unrolled: 1-line block ×9, first 2 shown]
	v_fma_f64 v[22:23], v[26:27], s[0:1], v[20:21]
	v_fma_f64 v[20:21], v[26:27], s[0:1], -v[20:21]
	v_fma_f64 v[47:48], v[26:27], s[4:5], v[45:46]
	v_fma_f64 v[45:46], v[26:27], s[4:5], -v[45:46]
	;; [unrolled: 2-line block ×3, first 2 shown]
	v_fma_f64 v[63:64], v[26:27], s[18:19], v[61:62]
	v_mul_f64 v[65:66], v[28:29], s[18:19]
	v_fma_f64 v[61:62], v[26:27], s[18:19], -v[61:62]
	v_fma_f64 v[178:179], v[26:27], s[22:23], v[69:70]
	v_mul_f64 v[36:37], v[28:29], s[22:23]
	v_fma_f64 v[69:70], v[26:27], s[22:23], -v[69:70]
	;; [unrolled: 3-line block ×3, first 2 shown]
	v_add_f64 v[22:23], v[12:13], v[22:23]
	v_fma_f64 v[43:44], v[16:17], s[24:25], v[41:42]
	v_add_f64 v[20:21], v[12:13], v[20:21]
	v_fma_f64 v[41:42], v[16:17], s[2:3], v[41:42]
	;; [unrolled: 2-line block ×12, first 2 shown]
	v_add_f64 v[18:19], v[6:7], v[10:11]
	v_add_f64 v[6:7], v[6:7], -v[10:11]
	v_add_f64 v[43:44], v[14:15], v[43:44]
	v_add_f64 v[41:42], v[14:15], v[41:42]
	;; [unrolled: 1-line block ×13, first 2 shown]
	v_add_f64 v[4:5], v[4:5], -v[8:9]
	v_mul_f64 v[8:9], v[6:7], s[12:13]
	v_fma_f64 v[10:11], v[16:17], s[4:5], v[8:9]
	v_fma_f64 v[8:9], v[16:17], s[4:5], -v[8:9]
	v_add_f64 v[10:11], v[10:11], v[22:23]
	v_mul_f64 v[22:23], v[18:19], s[4:5]
	v_add_f64 v[8:9], v[8:9], v[20:21]
	v_fma_f64 v[20:21], v[4:5], s[12:13], v[22:23]
	v_fma_f64 v[26:27], v[4:5], s[36:37], v[22:23]
	v_mul_f64 v[22:23], v[6:7], s[20:21]
	v_add_f64 v[20:21], v[20:21], v[41:42]
	v_mul_f64 v[41:42], v[18:19], s[18:19]
	v_add_f64 v[26:27], v[26:27], v[43:44]
	v_fma_f64 v[28:29], v[16:17], s[18:19], v[22:23]
	v_fma_f64 v[22:23], v[16:17], s[18:19], -v[22:23]
	v_fma_f64 v[43:44], v[4:5], s[38:39], v[41:42]
	v_fma_f64 v[41:42], v[4:5], s[20:21], v[41:42]
	v_add_f64 v[28:29], v[28:29], v[47:48]
	v_add_f64 v[22:23], v[22:23], v[45:46]
	v_mul_f64 v[45:46], v[6:7], s[34:35]
	v_add_f64 v[43:44], v[43:44], v[51:52]
	v_add_f64 v[41:42], v[41:42], v[49:50]
	v_mul_f64 v[49:50], v[18:19], s[30:31]
	v_fma_f64 v[47:48], v[16:17], s[30:31], v[45:46]
	v_fma_f64 v[45:46], v[16:17], s[30:31], -v[45:46]
	v_fma_f64 v[51:52], v[4:5], s[42:43], v[49:50]
	v_fma_f64 v[49:50], v[4:5], s[34:35], v[49:50]
	v_add_f64 v[47:48], v[47:48], v[55:56]
	v_add_f64 v[45:46], v[45:46], v[53:54]
	v_mul_f64 v[53:54], v[6:7], s[40:41]
	v_add_f64 v[51:52], v[51:52], v[59:60]
	v_add_f64 v[49:50], v[49:50], v[57:58]
	v_mul_f64 v[57:58], v[18:19], s[22:23]
	v_fma_f64 v[55:56], v[16:17], s[22:23], v[53:54]
	v_fma_f64 v[53:54], v[16:17], s[22:23], -v[53:54]
	v_fma_f64 v[59:60], v[4:5], s[26:27], v[57:58]
	v_fma_f64 v[57:58], v[4:5], s[40:41], v[57:58]
	v_add_f64 v[55:56], v[55:56], v[63:64]
	v_add_f64 v[53:54], v[53:54], v[61:62]
	v_mul_f64 v[61:62], v[6:7], s[28:29]
	v_mul_f64 v[6:7], v[6:7], s[24:25]
	v_add_f64 v[59:60], v[59:60], v[67:68]
	v_add_f64 v[57:58], v[57:58], v[65:66]
	v_mul_f64 v[65:66], v[18:19], s[14:15]
	v_mul_f64 v[18:19], v[18:19], s[0:1]
	v_fma_f64 v[63:64], v[16:17], s[14:15], v[61:62]
	v_fma_f64 v[61:62], v[16:17], s[14:15], -v[61:62]
	v_fma_f64 v[67:68], v[4:5], s[16:17], v[65:66]
	v_fma_f64 v[65:66], v[4:5], s[28:29], v[65:66]
	v_add_f64 v[63:64], v[63:64], v[178:179]
	v_add_f64 v[61:62], v[61:62], v[69:70]
	v_add_f64 v[178:179], v[224:225], -v[228:229]
	v_add_f64 v[69:70], v[226:227], v[230:231]
	v_add_f64 v[38:39], v[67:68], v[38:39]
	;; [unrolled: 1-line block ×3, first 2 shown]
	v_fma_f64 v[65:66], v[16:17], s[0:1], v[6:7]
	v_fma_f64 v[6:7], v[16:17], s[0:1], -v[6:7]
	v_add_f64 v[30:31], v[65:66], v[30:31]
	v_fma_f64 v[65:66], v[4:5], s[2:3], v[18:19]
	v_fma_f64 v[4:5], v[4:5], s[24:25], v[18:19]
	v_add_f64 v[6:7], v[6:7], v[12:13]
	v_add_f64 v[12:13], v[252:253], v[0:1]
	v_add_f64 v[0:1], v[252:253], -v[0:1]
	v_add_f64 v[65:66], v[65:66], v[232:233]
	v_add_f64 v[4:5], v[4:5], v[14:15]
	;; [unrolled: 1-line block ×3, first 2 shown]
	v_add_f64 v[2:3], v[254:255], -v[2:3]
	v_mul_f64 v[16:17], v[2:3], s[16:17]
	v_fma_f64 v[18:19], v[12:13], s[14:15], v[16:17]
	v_fma_f64 v[16:17], v[12:13], s[14:15], -v[16:17]
	v_add_f64 v[10:11], v[18:19], v[10:11]
	v_mul_f64 v[18:19], v[14:15], s[14:15]
	v_add_f64 v[8:9], v[16:17], v[8:9]
	v_fma_f64 v[67:68], v[0:1], s[28:29], v[18:19]
	v_fma_f64 v[16:17], v[0:1], s[16:17], v[18:19]
	v_mul_f64 v[18:19], v[2:3], s[34:35]
	v_add_f64 v[26:27], v[67:68], v[26:27]
	v_add_f64 v[16:17], v[16:17], v[20:21]
	v_fma_f64 v[20:21], v[12:13], s[30:31], v[18:19]
	v_fma_f64 v[18:19], v[12:13], s[30:31], -v[18:19]
	v_add_f64 v[20:21], v[20:21], v[28:29]
	v_mul_f64 v[28:29], v[14:15], s[30:31]
	v_add_f64 v[18:19], v[18:19], v[22:23]
	v_fma_f64 v[67:68], v[0:1], s[42:43], v[28:29]
	v_fma_f64 v[22:23], v[0:1], s[34:35], v[28:29]
	v_mul_f64 v[28:29], v[2:3], s[38:39]
	v_add_f64 v[43:44], v[67:68], v[43:44]
	v_add_f64 v[22:23], v[22:23], v[41:42]
	;; [unrolled: 10-line block ×3, first 2 shown]
	v_fma_f64 v[49:50], v[12:13], s[0:1], v[47:48]
	v_fma_f64 v[47:48], v[12:13], s[0:1], -v[47:48]
	v_add_f64 v[49:50], v[49:50], v[55:56]
	v_mul_f64 v[55:56], v[14:15], s[0:1]
	v_add_f64 v[47:48], v[47:48], v[53:54]
	v_fma_f64 v[67:68], v[0:1], s[2:3], v[55:56]
	v_fma_f64 v[53:54], v[0:1], s[24:25], v[55:56]
	v_mul_f64 v[55:56], v[2:3], s[12:13]
	v_mul_f64 v[2:3], v[2:3], s[26:27]
	v_add_f64 v[59:60], v[67:68], v[59:60]
	v_add_f64 v[53:54], v[53:54], v[57:58]
	v_fma_f64 v[57:58], v[12:13], s[4:5], v[55:56]
	v_fma_f64 v[55:56], v[12:13], s[4:5], -v[55:56]
	v_add_f64 v[57:58], v[57:58], v[63:64]
	v_mul_f64 v[63:64], v[14:15], s[4:5]
	v_add_f64 v[55:56], v[55:56], v[61:62]
	v_mul_f64 v[14:15], v[14:15], s[22:23]
	v_fma_f64 v[61:62], v[0:1], s[12:13], v[63:64]
	v_fma_f64 v[67:68], v[0:1], s[36:37], v[63:64]
	v_add_f64 v[36:37], v[61:62], v[36:37]
	v_fma_f64 v[61:62], v[12:13], s[22:23], v[2:3]
	v_fma_f64 v[2:3], v[12:13], s[22:23], -v[2:3]
	v_add_f64 v[12:13], v[244:245], -v[248:249]
	v_add_f64 v[38:39], v[67:68], v[38:39]
	v_add_f64 v[30:31], v[61:62], v[30:31]
	v_fma_f64 v[61:62], v[0:1], s[40:41], v[14:15]
	v_fma_f64 v[0:1], v[0:1], s[26:27], v[14:15]
	v_add_f64 v[14:15], v[246:247], -v[250:251]
	v_add_f64 v[2:3], v[2:3], v[6:7]
	v_add_f64 v[6:7], v[246:247], v[250:251]
	;; [unrolled: 1-line block ×5, first 2 shown]
	v_mul_f64 v[63:64], v[14:15], s[20:21]
	v_fma_f64 v[65:66], v[4:5], s[18:19], v[63:64]
	v_fma_f64 v[63:64], v[4:5], s[18:19], -v[63:64]
	v_add_f64 v[10:11], v[65:66], v[10:11]
	v_mul_f64 v[65:66], v[6:7], s[18:19]
	v_add_f64 v[8:9], v[63:64], v[8:9]
	v_fma_f64 v[63:64], v[12:13], s[20:21], v[65:66]
	v_fma_f64 v[67:68], v[12:13], s[38:39], v[65:66]
	v_add_f64 v[16:17], v[63:64], v[16:17]
	v_mul_f64 v[63:64], v[14:15], s[40:41]
	v_add_f64 v[26:27], v[67:68], v[26:27]
	v_fma_f64 v[65:66], v[4:5], s[22:23], v[63:64]
	v_fma_f64 v[63:64], v[4:5], s[22:23], -v[63:64]
	v_add_f64 v[20:21], v[65:66], v[20:21]
	v_mul_f64 v[65:66], v[6:7], s[22:23]
	v_add_f64 v[18:19], v[63:64], v[18:19]
	v_fma_f64 v[63:64], v[12:13], s[40:41], v[65:66]
	v_fma_f64 v[67:68], v[12:13], s[26:27], v[65:66]
	v_add_f64 v[22:23], v[63:64], v[22:23]
	v_mul_f64 v[63:64], v[14:15], s[24:25]
	v_add_f64 v[43:44], v[67:68], v[43:44]
	;; [unrolled: 10-line block ×3, first 2 shown]
	v_fma_f64 v[65:66], v[4:5], s[14:15], v[63:64]
	v_fma_f64 v[63:64], v[4:5], s[14:15], -v[63:64]
	v_add_f64 v[49:50], v[65:66], v[49:50]
	v_mul_f64 v[65:66], v[6:7], s[14:15]
	v_add_f64 v[47:48], v[63:64], v[47:48]
	v_fma_f64 v[63:64], v[12:13], s[16:17], v[65:66]
	v_fma_f64 v[67:68], v[12:13], s[28:29], v[65:66]
	v_add_f64 v[53:54], v[63:64], v[53:54]
	v_mul_f64 v[63:64], v[14:15], s[42:43]
	v_mul_f64 v[14:15], v[14:15], s[36:37]
	v_add_f64 v[59:60], v[67:68], v[59:60]
	v_fma_f64 v[65:66], v[4:5], s[30:31], v[63:64]
	v_fma_f64 v[63:64], v[4:5], s[30:31], -v[63:64]
	v_add_f64 v[57:58], v[65:66], v[57:58]
	v_mul_f64 v[65:66], v[6:7], s[30:31]
	v_add_f64 v[55:56], v[63:64], v[55:56]
	v_mul_f64 v[6:7], v[6:7], s[4:5]
	v_fma_f64 v[63:64], v[12:13], s[42:43], v[65:66]
	v_fma_f64 v[67:68], v[12:13], s[34:35], v[65:66]
	v_add_f64 v[36:37], v[63:64], v[36:37]
	v_fma_f64 v[63:64], v[4:5], s[4:5], v[14:15]
	v_fma_f64 v[4:5], v[4:5], s[4:5], -v[14:15]
	v_add_f64 v[14:15], v[238:239], -v[242:243]
	v_add_f64 v[38:39], v[67:68], v[38:39]
	v_add_f64 v[30:31], v[63:64], v[30:31]
	v_fma_f64 v[63:64], v[12:13], s[12:13], v[6:7]
	v_add_f64 v[2:3], v[4:5], v[2:3]
	v_fma_f64 v[4:5], v[12:13], s[36:37], v[6:7]
	v_add_f64 v[6:7], v[238:239], v[242:243]
	v_add_f64 v[12:13], v[236:237], -v[240:241]
	v_add_f64 v[61:62], v[63:64], v[61:62]
	v_mul_f64 v[63:64], v[14:15], s[26:27]
	v_add_f64 v[0:1], v[4:5], v[0:1]
	v_add_f64 v[4:5], v[236:237], v[240:241]
	v_fma_f64 v[65:66], v[4:5], s[22:23], v[63:64]
	v_fma_f64 v[63:64], v[4:5], s[22:23], -v[63:64]
	v_add_f64 v[10:11], v[65:66], v[10:11]
	v_mul_f64 v[65:66], v[6:7], s[22:23]
	v_add_f64 v[8:9], v[63:64], v[8:9]
	v_fma_f64 v[63:64], v[12:13], s[26:27], v[65:66]
	v_fma_f64 v[67:68], v[12:13], s[40:41], v[65:66]
	v_add_f64 v[16:17], v[63:64], v[16:17]
	v_mul_f64 v[63:64], v[14:15], s[28:29]
	v_add_f64 v[26:27], v[67:68], v[26:27]
	v_fma_f64 v[65:66], v[4:5], s[14:15], v[63:64]
	v_fma_f64 v[63:64], v[4:5], s[14:15], -v[63:64]
	v_add_f64 v[20:21], v[65:66], v[20:21]
	v_mul_f64 v[65:66], v[6:7], s[14:15]
	v_add_f64 v[18:19], v[63:64], v[18:19]
	v_fma_f64 v[63:64], v[12:13], s[28:29], v[65:66]
	v_fma_f64 v[67:68], v[12:13], s[16:17], v[65:66]
	v_add_f64 v[22:23], v[63:64], v[22:23]
	v_mul_f64 v[63:64], v[14:15], s[12:13]
	;; [unrolled: 10-line block ×4, first 2 shown]
	v_mul_f64 v[14:15], v[14:15], s[20:21]
	v_add_f64 v[59:60], v[67:68], v[59:60]
	v_fma_f64 v[65:66], v[4:5], s[0:1], v[63:64]
	v_fma_f64 v[63:64], v[4:5], s[0:1], -v[63:64]
	v_add_f64 v[57:58], v[65:66], v[57:58]
	v_mul_f64 v[65:66], v[6:7], s[0:1]
	v_add_f64 v[55:56], v[63:64], v[55:56]
	v_mul_f64 v[6:7], v[6:7], s[18:19]
	v_fma_f64 v[63:64], v[12:13], s[24:25], v[65:66]
	v_fma_f64 v[67:68], v[12:13], s[2:3], v[65:66]
	v_add_f64 v[36:37], v[63:64], v[36:37]
	v_fma_f64 v[63:64], v[4:5], s[18:19], v[14:15]
	v_add_f64 v[38:39], v[67:68], v[38:39]
	v_fma_f64 v[4:5], v[4:5], s[18:19], -v[14:15]
	v_add_f64 v[67:68], v[224:225], v[228:229]
	v_add_f64 v[224:225], v[226:227], -v[230:231]
	v_mul_f64 v[14:15], v[69:70], s[0:1]
	v_add_f64 v[30:31], v[63:64], v[30:31]
	v_fma_f64 v[63:64], v[12:13], s[38:39], v[6:7]
	v_add_f64 v[61:62], v[63:64], v[61:62]
	v_add_f64 v[63:64], v[4:5], v[2:3]
	v_fma_f64 v[2:3], v[12:13], s[20:21], v[6:7]
	v_mul_f64 v[4:5], v[224:225], s[34:35]
	v_mul_f64 v[12:13], v[224:225], s[24:25]
	;; [unrolled: 1-line block ×3, first 2 shown]
	v_add_f64 v[65:66], v[2:3], v[0:1]
	v_fma_f64 v[0:1], v[67:68], s[30:31], v[4:5]
	v_fma_f64 v[4:5], v[67:68], s[30:31], -v[4:5]
	v_fma_f64 v[2:3], v[178:179], s[42:43], v[6:7]
	v_fma_f64 v[6:7], v[178:179], s[34:35], v[6:7]
	v_add_f64 v[0:1], v[0:1], v[10:11]
	v_add_f64 v[4:5], v[4:5], v[8:9]
	v_fma_f64 v[8:9], v[67:68], s[0:1], v[12:13]
	v_fma_f64 v[10:11], v[178:179], s[2:3], v[14:15]
	;; [unrolled: 1-line block ×3, first 2 shown]
	v_add_f64 v[6:7], v[6:7], v[16:17]
	v_fma_f64 v[12:13], v[67:68], s[0:1], -v[12:13]
	v_add_f64 v[2:3], v[2:3], v[26:27]
	v_add_f64 v[8:9], v[8:9], v[20:21]
	v_mul_f64 v[20:21], v[224:225], s[26:27]
	v_add_f64 v[14:15], v[14:15], v[22:23]
	v_mul_f64 v[22:23], v[69:70], s[22:23]
	v_add_f64 v[12:13], v[12:13], v[18:19]
	v_add_f64 v[10:11], v[10:11], v[43:44]
	v_mul_f64 v[43:44], v[69:70], s[4:5]
	v_fma_f64 v[16:17], v[67:68], s[22:23], v[20:21]
	v_fma_f64 v[20:21], v[67:68], s[22:23], -v[20:21]
	v_fma_f64 v[18:19], v[178:179], s[40:41], v[22:23]
	v_fma_f64 v[22:23], v[178:179], s[26:27], v[22:23]
	v_add_f64 v[16:17], v[16:17], v[41:42]
	v_mul_f64 v[41:42], v[224:225], s[36:37]
	v_add_f64 v[18:19], v[18:19], v[51:52]
	v_mul_f64 v[51:52], v[69:70], s[18:19]
	v_add_f64 v[22:23], v[22:23], v[45:46]
	v_add_f64 v[20:21], v[20:21], v[28:29]
	v_fma_f64 v[28:29], v[178:179], s[12:13], v[43:44]
	v_fma_f64 v[43:44], v[178:179], s[36:37], v[43:44]
	;; [unrolled: 1-line block ×3, first 2 shown]
	v_fma_f64 v[41:42], v[67:68], s[4:5], -v[41:42]
	v_add_f64 v[28:29], v[28:29], v[59:60]
	v_add_f64 v[43:44], v[43:44], v[53:54]
	v_add_f64 v[26:27], v[26:27], v[49:50]
	v_add_f64 v[41:42], v[41:42], v[47:48]
	v_mul_f64 v[49:50], v[224:225], s[20:21]
	v_fma_f64 v[47:48], v[178:179], s[38:39], v[51:52]
	v_fma_f64 v[45:46], v[67:68], s[18:19], v[49:50]
	v_add_f64 v[47:48], v[47:48], v[38:39]
	v_fma_f64 v[38:39], v[67:68], s[18:19], -v[49:50]
	v_add_f64 v[45:46], v[45:46], v[57:58]
	v_add_f64 v[49:50], v[38:39], v[55:56]
	v_fma_f64 v[38:39], v[178:179], s[20:21], v[51:52]
	v_add_f64 v[51:52], v[38:39], v[36:37]
	v_mul_f64 v[36:37], v[224:225], s[28:29]
	v_fma_f64 v[38:39], v[67:68], s[14:15], v[36:37]
	v_fma_f64 v[36:37], v[67:68], s[14:15], -v[36:37]
	v_add_f64 v[53:54], v[38:39], v[30:31]
	v_mul_f64 v[30:31], v[69:70], s[14:15]
	v_add_f64 v[57:58], v[36:37], v[63:64]
	v_fma_f64 v[38:39], v[178:179], s[16:17], v[30:31]
	v_fma_f64 v[30:31], v[178:179], s[28:29], v[30:31]
	v_add_f64 v[55:56], v[38:39], v[61:62]
	v_add_f64 v[59:60], v[30:31], v[65:66]
	ds_write_b128 v177, v[80:83]
	ds_write_b128 v177, v[0:3] offset:16
	ds_write_b128 v177, v[8:11] offset:32
	;; [unrolled: 1-line block ×12, first 2 shown]
	s_and_saveexec_b64 s[44:45], vcc
	s_cbranch_execz .LBB0_13
; %bb.12:
	buffer_store_dword v100, off, s[52:55], 0 offset:4 ; 4-byte Folded Spill
	s_nop 0
	buffer_store_dword v101, off, s[52:55], 0 offset:8 ; 4-byte Folded Spill
	buffer_store_dword v102, off, s[52:55], 0 offset:12 ; 4-byte Folded Spill
	buffer_store_dword v103, off, s[52:55], 0 offset:16 ; 4-byte Folded Spill
	buffer_load_dword v100, off, s[52:55], 0 offset:20 ; 4-byte Folded Reload
	s_nop 0
	buffer_load_dword v101, off, s[52:55], 0 offset:24 ; 4-byte Folded Reload
	buffer_load_dword v102, off, s[52:55], 0 offset:28 ; 4-byte Folded Reload
	buffer_load_dword v103, off, s[52:55], 0 offset:32 ; 4-byte Folded Reload
	s_nop 0
	buffer_store_dword v116, off, s[52:55], 0 offset:440 ; 4-byte Folded Spill
	s_nop 0
	buffer_store_dword v117, off, s[52:55], 0 offset:444 ; 4-byte Folded Spill
	buffer_store_dword v118, off, s[52:55], 0 offset:448 ; 4-byte Folded Spill
	buffer_store_dword v119, off, s[52:55], 0 offset:452 ; 4-byte Folded Spill
	buffer_load_dword v116, off, s[52:55], 0 offset:84 ; 4-byte Folded Reload
	s_nop 0
	buffer_load_dword v117, off, s[52:55], 0 offset:88 ; 4-byte Folded Reload
	buffer_load_dword v118, off, s[52:55], 0 offset:92 ; 4-byte Folded Reload
	buffer_load_dword v119, off, s[52:55], 0 offset:96 ; 4-byte Folded Reload
	s_nop 0
	;; [unrolled: 11-line block ×4, first 2 shown]
	buffer_store_dword v108, off, s[52:55], 0 offset:408 ; 4-byte Folded Spill
	s_nop 0
	buffer_store_dword v109, off, s[52:55], 0 offset:412 ; 4-byte Folded Spill
	buffer_store_dword v110, off, s[52:55], 0 offset:416 ; 4-byte Folded Spill
	;; [unrolled: 1-line block ×3, first 2 shown]
	buffer_load_dword v108, off, s[52:55], 0 offset:52 ; 4-byte Folded Reload
	s_nop 0
	buffer_load_dword v109, off, s[52:55], 0 offset:56 ; 4-byte Folded Reload
	buffer_load_dword v110, off, s[52:55], 0 offset:60 ; 4-byte Folded Reload
	;; [unrolled: 1-line block ×3, first 2 shown]
	v_add_f64 v[224:225], v[216:217], -v[220:221]
	v_add_f64 v[230:231], v[218:219], -v[222:223]
	v_add_f64 v[12:13], v[218:219], v[222:223]
	v_add_f64 v[254:255], v[216:217], v[220:221]
	v_mov_b32_e32 v179, v128
	s_waitcnt vmcnt(34)
	v_add_f64 v[28:29], v[196:197], -v[100:101]
	s_waitcnt vmcnt(32)
	v_add_f64 v[22:23], v[198:199], v[102:103]
	v_add_f64 v[244:245], v[198:199], -v[102:103]
	v_add_f64 v[240:241], v[196:197], v[100:101]
	s_waitcnt vmcnt(18)
	v_add_f64 v[232:233], v[208:209], -v[112:113]
	s_waitcnt vmcnt(16)
	v_add_f64 v[16:17], v[210:211], v[114:115]
	s_waitcnt vmcnt(10)
	v_add_f64 v[26:27], v[200:201], -v[104:105]
	s_waitcnt vmcnt(8)
	v_add_f64 v[20:21], v[202:203], v[106:107]
	v_mul_f64 v[0:1], v[28:29], s[34:35]
	s_waitcnt vmcnt(2)
	v_add_f64 v[236:237], v[204:205], -v[108:109]
	v_add_f64 v[242:243], v[202:203], -v[106:107]
	v_mul_f64 v[8:9], v[244:245], s[34:35]
	s_waitcnt vmcnt(0)
	v_add_f64 v[18:19], v[206:207], v[110:111]
	v_add_f64 v[248:249], v[206:207], -v[110:111]
	v_mul_f64 v[2:3], v[26:27], s[24:25]
	v_add_f64 v[238:239], v[200:201], v[104:105]
	v_fma_f64 v[4:5], v[22:23], s[30:31], v[0:1]
	v_mul_f64 v[6:7], v[236:237], s[26:27]
	v_mul_f64 v[36:37], v[242:243], s[24:25]
	v_fma_f64 v[41:42], v[240:241], s[30:31], -v[8:9]
	v_add_f64 v[252:253], v[210:211], -v[114:115]
	v_mul_f64 v[30:31], v[232:233], s[36:37]
	v_fma_f64 v[10:11], v[20:21], s[0:1], v[2:3]
	v_add_f64 v[234:235], v[204:205], v[108:109]
	v_add_f64 v[4:5], v[194:195], v[4:5]
	v_fma_f64 v[38:39], v[18:19], s[22:23], v[6:7]
	v_mul_f64 v[43:44], v[248:249], s[26:27]
	v_fma_f64 v[0:1], v[22:23], s[30:31], -v[0:1]
	v_fma_f64 v[47:48], v[238:239], s[0:1], -v[36:37]
	v_add_f64 v[41:42], v[192:193], v[41:42]
	v_add_f64 v[228:229], v[212:213], -v[116:117]
	v_add_f64 v[246:247], v[214:215], -v[118:119]
	v_add_f64 v[4:5], v[10:11], v[4:5]
	v_add_f64 v[226:227], v[208:209], v[112:113]
	v_fma_f64 v[45:46], v[16:17], s[4:5], v[30:31]
	v_mul_f64 v[49:50], v[252:253], s[36:37]
	v_fma_f64 v[2:3], v[20:21], s[0:1], -v[2:3]
	v_add_f64 v[0:1], v[194:195], v[0:1]
	v_fma_f64 v[53:54], v[234:235], s[22:23], -v[43:44]
	v_add_f64 v[41:42], v[47:48], v[41:42]
	v_add_f64 v[4:5], v[38:39], v[4:5]
	;; [unrolled: 1-line block ×3, first 2 shown]
	v_mul_f64 v[10:11], v[228:229], s[20:21]
	v_add_f64 v[250:251], v[212:213], v[116:117]
	v_fma_f64 v[6:7], v[18:19], s[22:23], -v[6:7]
	v_add_f64 v[0:1], v[2:3], v[0:1]
	v_fma_f64 v[2:3], v[226:227], s[4:5], -v[49:50]
	v_add_f64 v[41:42], v[53:54], v[41:42]
	v_add_f64 v[4:5], v[45:46], v[4:5]
	v_mul_f64 v[45:46], v[246:247], s[20:21]
	v_fma_f64 v[8:9], v[240:241], s[30:31], v[8:9]
	v_mul_f64 v[38:39], v[224:225], s[28:29]
	v_fma_f64 v[51:52], v[14:15], s[18:19], v[10:11]
	v_fma_f64 v[30:31], v[16:17], s[4:5], -v[30:31]
	v_add_f64 v[0:1], v[6:7], v[0:1]
	v_mul_f64 v[47:48], v[230:231], s[28:29]
	v_add_f64 v[2:3], v[2:3], v[41:42]
	v_fma_f64 v[6:7], v[250:251], s[18:19], -v[45:46]
	v_fma_f64 v[36:37], v[238:239], s[0:1], v[36:37]
	v_add_f64 v[8:9], v[192:193], v[8:9]
	v_fma_f64 v[41:42], v[12:13], s[14:15], v[38:39]
	v_fma_f64 v[10:11], v[14:15], s[18:19], -v[10:11]
	v_add_f64 v[0:1], v[30:31], v[0:1]
	v_add_f64 v[4:5], v[51:52], v[4:5]
	v_fma_f64 v[30:31], v[254:255], s[14:15], -v[47:48]
	v_add_f64 v[6:7], v[6:7], v[2:3]
	v_fma_f64 v[43:44], v[234:235], s[22:23], v[43:44]
	v_add_f64 v[8:9], v[36:37], v[8:9]
	v_fma_f64 v[36:37], v[12:13], s[14:15], -v[38:39]
	v_fma_f64 v[38:39], v[226:227], s[4:5], v[49:50]
	v_add_f64 v[10:11], v[10:11], v[0:1]
	v_add_f64 v[2:3], v[41:42], v[4:5]
	v_mul_f64 v[49:50], v[28:29], s[26:27]
	v_add_f64 v[0:1], v[30:31], v[6:7]
	v_mul_f64 v[4:5], v[244:245], s[26:27]
	v_add_f64 v[8:9], v[43:44], v[8:9]
	v_fma_f64 v[30:31], v[250:251], s[18:19], v[45:46]
	v_mul_f64 v[41:42], v[26:27], s[28:29]
	v_mul_f64 v[45:46], v[236:237], s[12:13]
	;; [unrolled: 1-line block ×3, first 2 shown]
	buffer_store_dword v0, off, s[52:55], 0 offset:456 ; 4-byte Folded Spill
	s_nop 0
	buffer_store_dword v1, off, s[52:55], 0 offset:460 ; 4-byte Folded Spill
	buffer_store_dword v2, off, s[52:55], 0 offset:464 ; 4-byte Folded Spill
	;; [unrolled: 1-line block ×3, first 2 shown]
	v_fma_f64 v[43:44], v[22:23], s[22:23], v[49:50]
	v_add_f64 v[8:9], v[38:39], v[8:9]
	v_add_f64 v[2:3], v[36:37], v[10:11]
	v_mul_f64 v[10:11], v[242:243], s[28:29]
	v_fma_f64 v[36:37], v[240:241], s[22:23], -v[4:5]
	v_fma_f64 v[38:39], v[254:255], s[14:15], v[47:48]
	v_fma_f64 v[47:48], v[20:21], s[14:15], v[41:42]
	;; [unrolled: 1-line block ×3, first 2 shown]
	v_add_f64 v[43:44], v[194:195], v[43:44]
	v_add_f64 v[8:9], v[30:31], v[8:9]
	v_mul_f64 v[30:31], v[248:249], s[12:13]
	v_fma_f64 v[51:52], v[238:239], s[14:15], -v[10:11]
	v_add_f64 v[36:37], v[192:193], v[36:37]
	v_fma_f64 v[49:50], v[22:23], s[22:23], -v[49:50]
	v_mul_f64 v[57:58], v[252:253], s[42:43]
	v_fma_f64 v[41:42], v[20:21], s[14:15], -v[41:42]
	v_add_f64 v[43:44], v[47:48], v[43:44]
	v_mul_f64 v[47:48], v[228:229], s[24:25]
	v_fma_f64 v[59:60], v[234:235], s[4:5], -v[30:31]
	v_mul_f64 v[61:62], v[246:247], s[24:25]
	v_add_f64 v[36:37], v[51:52], v[36:37]
	v_fma_f64 v[51:52], v[16:17], s[30:31], v[53:54]
	v_add_f64 v[49:50], v[194:195], v[49:50]
	v_fma_f64 v[63:64], v[226:227], s[30:31], -v[57:58]
	v_add_f64 v[43:44], v[55:56], v[43:44]
	v_mul_f64 v[55:56], v[224:225], s[20:21]
	v_fma_f64 v[45:46], v[18:19], s[4:5], -v[45:46]
	v_fma_f64 v[4:5], v[240:241], s[22:23], v[4:5]
	v_add_f64 v[36:37], v[59:60], v[36:37]
	v_fma_f64 v[59:60], v[14:15], s[0:1], v[47:48]
	v_add_f64 v[41:42], v[41:42], v[49:50]
	v_mul_f64 v[49:50], v[230:231], s[20:21]
	v_add_f64 v[43:44], v[51:52], v[43:44]
	v_fma_f64 v[51:52], v[250:251], s[0:1], -v[61:62]
	v_fma_f64 v[53:54], v[16:17], s[30:31], -v[53:54]
	v_add_f64 v[65:66], v[192:193], v[4:5]
	v_add_f64 v[36:37], v[63:64], v[36:37]
	v_fma_f64 v[63:64], v[12:13], s[18:19], v[55:56]
	v_add_f64 v[41:42], v[45:46], v[41:42]
	v_fma_f64 v[45:46], v[254:255], s[18:19], -v[49:50]
	v_add_f64 v[43:44], v[59:60], v[43:44]
	v_fma_f64 v[59:60], v[238:239], s[14:15], v[10:11]
	v_add_f64 v[0:1], v[38:39], v[8:9]
	v_fma_f64 v[38:39], v[14:15], s[0:1], -v[47:48]
	v_add_f64 v[36:37], v[51:52], v[36:37]
	v_fma_f64 v[30:31], v[234:235], s[4:5], v[30:31]
	v_add_f64 v[41:42], v[53:54], v[41:42]
	v_mul_f64 v[51:52], v[26:27], s[40:41]
	v_add_f64 v[10:11], v[63:64], v[43:44]
	v_mul_f64 v[43:44], v[28:29], s[20:21]
	;; [unrolled: 2-line block ×4, first 2 shown]
	v_fma_f64 v[36:37], v[12:13], s[18:19], -v[55:56]
	v_add_f64 v[38:39], v[38:39], v[41:42]
	v_fma_f64 v[41:42], v[226:227], s[30:31], v[57:58]
	v_fma_f64 v[53:54], v[22:23], s[18:19], v[43:44]
	v_add_f64 v[30:31], v[30:31], v[47:48]
	v_fma_f64 v[47:48], v[254:255], s[18:19], v[49:50]
	v_mul_f64 v[49:50], v[242:243], s[40:41]
	v_fma_f64 v[55:56], v[240:241], s[18:19], -v[45:46]
	v_fma_f64 v[57:58], v[250:251], s[0:1], v[61:62]
	v_fma_f64 v[61:62], v[20:21], s[22:23], v[51:52]
	v_mul_f64 v[63:64], v[248:249], s[24:25]
	v_add_f64 v[53:54], v[194:195], v[53:54]
	v_add_f64 v[30:31], v[41:42], v[30:31]
	v_fma_f64 v[43:44], v[22:23], s[18:19], -v[43:44]
	v_fma_f64 v[41:42], v[238:239], s[22:23], -v[49:50]
	v_add_f64 v[55:56], v[192:193], v[55:56]
	v_mul_f64 v[65:66], v[232:233], s[16:17]
	v_fma_f64 v[67:68], v[18:19], s[0:1], v[59:60]
	v_mul_f64 v[69:70], v[252:253], s[16:17]
	v_add_f64 v[53:54], v[61:62], v[53:54]
	v_fma_f64 v[177:178], v[234:235], s[0:1], -v[63:64]
	v_fma_f64 v[51:52], v[20:21], s[22:23], -v[51:52]
	v_add_f64 v[43:44], v[194:195], v[43:44]
	v_add_f64 v[41:42], v[41:42], v[55:56]
	v_mul_f64 v[61:62], v[228:229], s[42:43]
	v_fma_f64 v[55:56], v[16:17], s[14:15], v[65:66]
	v_mul_f64 v[80:81], v[246:247], s[42:43]
	v_add_f64 v[53:54], v[67:68], v[53:54]
	v_fma_f64 v[82:83], v[226:227], s[14:15], -v[69:70]
	v_fma_f64 v[59:60], v[18:19], s[0:1], -v[59:60]
	v_add_f64 v[43:44], v[51:52], v[43:44]
	v_add_f64 v[41:42], v[177:178], v[41:42]
	v_mul_f64 v[67:68], v[224:225], s[36:37]
	v_fma_f64 v[51:52], v[14:15], s[30:31], v[61:62]
	v_add_f64 v[30:31], v[57:58], v[30:31]
	v_add_f64 v[53:54], v[55:56], v[53:54]
	v_fma_f64 v[57:58], v[250:251], s[30:31], -v[80:81]
	v_fma_f64 v[65:66], v[16:17], s[14:15], -v[65:66]
	v_add_f64 v[59:60], v[59:60], v[43:44]
	v_add_f64 v[41:42], v[82:83], v[41:42]
	v_mul_f64 v[55:56], v[230:231], s[36:37]
	v_fma_f64 v[82:83], v[12:13], s[4:5], v[67:68]
	v_add_f64 v[43:44], v[36:37], v[38:39]
	v_add_f64 v[51:52], v[51:52], v[53:54]
	v_fma_f64 v[38:39], v[240:241], s[18:19], v[45:46]
	v_fma_f64 v[53:54], v[14:15], s[30:31], -v[61:62]
	buffer_store_dword v0, off, s[52:55], 0 offset:472 ; 4-byte Folded Spill
	s_nop 0
	buffer_store_dword v1, off, s[52:55], 0 offset:476 ; 4-byte Folded Spill
	buffer_store_dword v2, off, s[52:55], 0 offset:480 ; 4-byte Folded Spill
	;; [unrolled: 1-line block ×3, first 2 shown]
	v_add_f64 v[45:46], v[57:58], v[41:42]
	v_add_f64 v[57:58], v[65:66], v[59:60]
	v_fma_f64 v[36:37], v[254:255], s[4:5], -v[55:56]
	v_add_f64 v[41:42], v[47:48], v[30:31]
	v_add_f64 v[47:48], v[82:83], v[51:52]
	v_fma_f64 v[30:31], v[238:239], s[22:23], v[49:50]
	v_mul_f64 v[49:50], v[28:29], s[16:17]
	v_add_f64 v[38:39], v[192:193], v[38:39]
	v_mul_f64 v[59:60], v[26:27], s[34:35]
	v_add_f64 v[51:52], v[53:54], v[57:58]
	;; [unrolled: 2-line block ×3, first 2 shown]
	v_fma_f64 v[36:37], v[12:13], s[4:5], -v[67:68]
	v_fma_f64 v[53:54], v[234:235], s[0:1], v[63:64]
	v_fma_f64 v[61:62], v[22:23], s[14:15], v[49:50]
	v_add_f64 v[30:31], v[30:31], v[38:39]
	v_mul_f64 v[65:66], v[242:243], s[34:35]
	v_fma_f64 v[38:39], v[254:255], s[4:5], v[55:56]
	v_fma_f64 v[67:68], v[240:241], s[14:15], -v[57:58]
	v_fma_f64 v[55:56], v[226:227], s[14:15], v[69:70]
	v_mul_f64 v[63:64], v[236:237], s[38:39]
	v_fma_f64 v[69:70], v[20:21], s[30:31], v[59:60]
	v_add_f64 v[61:62], v[194:195], v[61:62]
	v_add_f64 v[30:31], v[53:54], v[30:31]
	v_mul_f64 v[82:83], v[248:249], s[38:39]
	v_fma_f64 v[177:178], v[238:239], s[30:31], -v[65:66]
	v_add_f64 v[67:68], v[192:193], v[67:68]
	v_fma_f64 v[53:54], v[250:251], s[30:31], v[80:81]
	v_mul_f64 v[80:81], v[232:233], s[24:25]
	v_fma_f64 v[84:85], v[18:19], s[18:19], v[63:64]
	v_add_f64 v[61:62], v[69:70], v[61:62]
	v_add_f64 v[30:31], v[55:56], v[30:31]
	v_mul_f64 v[86:87], v[252:253], s[24:25]
	v_fma_f64 v[55:56], v[234:235], s[18:19], -v[82:83]
	v_fma_f64 v[49:50], v[22:23], s[14:15], -v[49:50]
	v_add_f64 v[67:68], v[177:178], v[67:68]
	v_mov_b32_e32 v0, v32
	v_mov_b32_e32 v1, v33
	;; [unrolled: 1-line block ×14, first 2 shown]
	buffer_store_dword v71, off, s[52:55], 0 offset:488 ; 4-byte Folded Spill
	v_mov_b32_e32 v170, v155
	v_mov_b32_e32 v169, v154
	;; [unrolled: 1-line block ×37, first 2 shown]
	v_mul_f64 v[69:70], v[228:229], s[12:13]
	v_fma_f64 v[177:178], v[16:17], s[0:1], v[80:81]
	v_add_f64 v[61:62], v[84:85], v[61:62]
	v_mov_b32_e32 v122, v90
	v_mov_b32_e32 v121, v89
	;; [unrolled: 1-line block ×3, first 2 shown]
	v_mul_f64 v[88:89], v[246:247], s[12:13]
	v_fma_f64 v[90:91], v[226:227], s[0:1], -v[86:87]
	v_fma_f64 v[59:60], v[20:21], s[30:31], -v[59:60]
	v_add_f64 v[49:50], v[194:195], v[49:50]
	v_add_f64 v[55:56], v[55:56], v[67:68]
	v_mul_f64 v[84:85], v[224:225], s[26:27]
	v_fma_f64 v[67:68], v[14:15], s[4:5], v[69:70]
	v_add_f64 v[61:62], v[177:178], v[61:62]
	v_add_f64 v[30:31], v[53:54], v[30:31]
	v_mul_f64 v[177:178], v[230:231], s[26:27]
	v_fma_f64 v[53:54], v[250:251], s[4:5], -v[88:89]
	v_fma_f64 v[63:64], v[18:19], s[18:19], -v[63:64]
	v_add_f64 v[49:50], v[59:60], v[49:50]
	v_add_f64 v[55:56], v[90:91], v[55:56]
	v_fma_f64 v[59:60], v[12:13], s[22:23], v[84:85]
	v_add_f64 v[61:62], v[67:68], v[61:62]
	v_add_f64 v[51:52], v[36:37], v[51:52]
	v_fma_f64 v[36:37], v[254:255], s[22:23], -v[177:178]
	v_fma_f64 v[67:68], v[16:17], s[0:1], -v[80:81]
	v_fma_f64 v[57:58], v[240:241], s[14:15], v[57:58]
	v_add_f64 v[63:64], v[63:64], v[49:50]
	v_add_f64 v[53:54], v[53:54], v[55:56]
	;; [unrolled: 1-line block ×4, first 2 shown]
	v_fma_f64 v[30:31], v[14:15], s[4:5], -v[69:70]
	v_mul_f64 v[38:39], v[28:29], s[12:13]
	v_fma_f64 v[59:60], v[238:239], s[30:31], v[65:66]
	v_add_f64 v[57:58], v[192:193], v[57:58]
	v_add_f64 v[61:62], v[67:68], v[63:64]
	;; [unrolled: 1-line block ×3, first 2 shown]
	v_mul_f64 v[36:37], v[244:245], s[12:13]
	v_mul_f64 v[65:66], v[26:27], s[20:21]
	v_fma_f64 v[69:70], v[234:235], s[18:19], v[82:83]
	v_fma_f64 v[67:68], v[22:23], s[4:5], v[38:39]
	v_fma_f64 v[63:64], v[12:13], s[22:23], -v[84:85]
	v_add_f64 v[57:58], v[59:60], v[57:58]
	v_add_f64 v[30:31], v[30:31], v[61:62]
	v_mul_f64 v[61:62], v[242:243], s[20:21]
	v_fma_f64 v[59:60], v[240:241], s[4:5], -v[36:37]
	v_mul_f64 v[80:81], v[236:237], s[34:35]
	v_fma_f64 v[82:83], v[20:21], s[18:19], v[65:66]
	v_add_f64 v[67:68], v[194:195], v[67:68]
	v_fma_f64 v[84:85], v[226:227], s[0:1], v[86:87]
	v_add_f64 v[57:58], v[69:70], v[57:58]
	v_mul_f64 v[69:70], v[248:249], s[34:35]
	v_fma_f64 v[86:87], v[238:239], s[18:19], -v[61:62]
	v_add_f64 v[59:60], v[192:193], v[59:60]
	v_mov_b32_e32 v139, v127
	v_mov_b32_e32 v138, v126
	;; [unrolled: 1-line block ×8, first 2 shown]
	v_fma_f64 v[92:93], v[18:19], s[30:31], v[80:81]
	v_add_f64 v[67:68], v[82:83], v[67:68]
	v_fma_f64 v[82:83], v[250:251], s[4:5], v[88:89]
	v_add_f64 v[57:58], v[84:85], v[57:58]
	v_mul_f64 v[84:85], v[252:253], s[40:41]
	v_fma_f64 v[88:89], v[234:235], s[30:31], -v[69:70]
	v_add_f64 v[59:60], v[86:87], v[59:60]
	v_mul_f64 v[90:91], v[232:233], s[40:41]
	v_mov_b32_e32 v131, v99
	v_add_f64 v[67:68], v[92:93], v[67:68]
	v_fma_f64 v[92:93], v[254:255], s[22:23], v[177:178]
	v_add_f64 v[57:58], v[82:83], v[57:58]
	v_mul_f64 v[82:83], v[246:247], s[28:29]
	v_fma_f64 v[177:178], v[226:227], s[22:23], -v[84:85]
	v_add_f64 v[88:89], v[88:89], v[59:60]
	v_mul_f64 v[86:87], v[228:229], s[28:29]
	v_fma_f64 v[94:95], v[16:17], s[22:23], v[90:91]
	v_mov_b32_e32 v130, v98
	v_mov_b32_e32 v129, v97
	;; [unrolled: 1-line block ×3, first 2 shown]
	v_mul_f64 v[96:97], v[224:225], s[24:25]
	v_add_f64 v[59:60], v[63:64], v[30:31]
	v_fma_f64 v[30:31], v[22:23], s[4:5], -v[38:39]
	v_fma_f64 v[63:64], v[250:251], s[14:15], -v[82:83]
	v_add_f64 v[88:89], v[177:178], v[88:89]
	v_fma_f64 v[98:99], v[14:15], s[14:15], v[86:87]
	v_add_f64 v[67:68], v[94:95], v[67:68]
	v_add_f64 v[57:58], v[92:93], v[57:58]
	v_fma_f64 v[92:93], v[12:13], s[0:1], v[96:97]
	v_fma_f64 v[65:66], v[20:21], s[18:19], -v[65:66]
	v_add_f64 v[30:31], v[194:195], v[30:31]
	v_fma_f64 v[36:37], v[240:241], s[4:5], v[36:37]
	v_add_f64 v[63:64], v[63:64], v[88:89]
	v_fma_f64 v[88:89], v[12:13], s[0:1], -v[96:97]
	v_mul_f64 v[96:97], v[28:29], s[2:3]
	v_add_f64 v[67:68], v[98:99], v[67:68]
	v_fma_f64 v[28:29], v[14:15], s[14:15], -v[86:87]
	v_fma_f64 v[80:81], v[18:19], s[30:31], -v[80:81]
	v_add_f64 v[30:31], v[65:66], v[30:31]
	v_fma_f64 v[61:62], v[238:239], s[18:19], v[61:62]
	v_add_f64 v[36:37], v[192:193], v[36:37]
	v_fma_f64 v[65:66], v[16:17], s[22:23], -v[90:91]
	v_mul_f64 v[26:27], v[26:27], s[12:13]
	v_fma_f64 v[86:87], v[22:23], s[0:1], v[96:97]
	v_add_f64 v[90:91], v[194:195], v[198:199]
	v_add_f64 v[98:99], v[192:193], v[196:197]
	;; [unrolled: 1-line block ×3, first 2 shown]
	v_fma_f64 v[69:70], v[234:235], s[30:31], v[69:70]
	v_add_f64 v[36:37], v[61:62], v[36:37]
	v_mul_f64 v[61:62], v[236:237], s[16:17]
	v_fma_f64 v[80:81], v[20:21], s[4:5], v[26:27]
	v_add_f64 v[86:87], v[194:195], v[86:87]
	v_add_f64 v[90:91], v[90:91], v[202:203]
	;; [unrolled: 1-line block ×4, first 2 shown]
	v_fma_f64 v[65:66], v[226:227], s[22:23], v[84:85]
	v_add_f64 v[36:37], v[69:70], v[36:37]
	v_mul_f64 v[69:70], v[232:233], s[20:21]
	v_fma_f64 v[84:85], v[18:19], s[14:15], v[61:62]
	v_add_f64 v[80:81], v[80:81], v[86:87]
	v_add_f64 v[86:87], v[90:91], v[206:207]
	;; [unrolled: 1-line block ×4, first 2 shown]
	v_fma_f64 v[30:31], v[250:251], s[14:15], v[82:83]
	v_fma_f64 v[22:23], v[22:23], s[0:1], -v[96:97]
	v_fma_f64 v[82:83], v[16:17], s[18:19], v[69:70]
	v_mul_f64 v[96:97], v[242:243], s[12:13]
	v_add_f64 v[80:81], v[84:85], v[80:81]
	v_add_f64 v[84:85], v[86:87], v[210:211]
	;; [unrolled: 1-line block ×3, first 2 shown]
	v_mul_f64 v[198:199], v[248:249], s[16:17]
	v_fma_f64 v[20:21], v[20:21], s[4:5], -v[26:27]
	v_add_f64 v[22:23], v[194:195], v[22:23]
	v_mul_f64 v[177:178], v[252:253], s[20:21]
	v_fma_f64 v[26:27], v[238:239], s[4:5], v[96:97]
	v_add_f64 v[80:81], v[82:83], v[80:81]
	v_add_f64 v[82:83], v[84:85], v[214:215]
	v_add_f64 v[84:85], v[86:87], v[212:213]
	v_mul_f64 v[86:87], v[244:245], s[2:3]
	v_fma_f64 v[96:97], v[238:239], s[4:5], -v[96:97]
	v_fma_f64 v[18:19], v[18:19], s[14:15], -v[61:62]
	v_add_f64 v[20:21], v[20:21], v[22:23]
	v_fma_f64 v[22:23], v[234:235], s[14:15], v[198:199]
	v_mul_f64 v[98:99], v[246:247], s[26:27]
	v_add_f64 v[82:83], v[82:83], v[218:219]
	v_add_f64 v[84:85], v[84:85], v[216:217]
	v_fma_f64 v[196:197], v[240:241], s[0:1], v[86:87]
	v_fma_f64 v[86:87], v[240:241], s[0:1], -v[86:87]
	v_fma_f64 v[16:17], v[16:17], s[18:19], -v[69:70]
	v_add_f64 v[18:19], v[18:19], v[20:21]
	v_fma_f64 v[20:21], v[226:227], s[18:19], v[177:178]
	v_add_f64 v[36:37], v[65:66], v[36:37]
	v_add_f64 v[82:83], v[82:83], v[222:223]
	;; [unrolled: 1-line block ×5, first 2 shown]
	v_mul_f64 v[65:66], v[228:229], s[26:27]
	v_mul_f64 v[38:39], v[230:231], s[24:25]
	;; [unrolled: 1-line block ×3, first 2 shown]
	v_add_f64 v[16:17], v[16:17], v[18:19]
	v_add_f64 v[61:62], v[82:83], v[118:119]
	;; [unrolled: 1-line block ×4, first 2 shown]
	v_fma_f64 v[84:85], v[234:235], s[14:15], -v[198:199]
	v_add_f64 v[86:87], v[96:97], v[86:87]
	v_fma_f64 v[18:19], v[250:251], s[22:23], v[98:99]
	v_add_f64 v[28:29], v[88:89], v[28:29]
	v_fma_f64 v[88:89], v[14:15], s[22:23], v[65:66]
	v_add_f64 v[61:62], v[61:62], v[114:115]
	v_add_f64 v[69:70], v[82:83], v[112:113]
	;; [unrolled: 1-line block ×3, first 2 shown]
	v_fma_f64 v[26:27], v[226:227], s[18:19], -v[177:178]
	v_add_f64 v[82:83], v[84:85], v[86:87]
	v_fma_f64 v[14:15], v[14:15], s[22:23], -v[65:66]
	v_fma_f64 v[94:95], v[254:255], s[0:1], -v[38:39]
	v_add_f64 v[30:31], v[30:31], v[36:37]
	v_add_f64 v[61:62], v[61:62], v[110:111]
	;; [unrolled: 1-line block ×4, first 2 shown]
	v_mul_f64 v[36:37], v[224:225], s[34:35]
	v_fma_f64 v[22:23], v[250:251], s[22:23], -v[98:99]
	v_add_f64 v[26:27], v[26:27], v[82:83]
	v_fma_f64 v[82:83], v[254:255], s[30:31], v[90:91]
	v_fma_f64 v[38:39], v[254:255], s[0:1], v[38:39]
	v_add_f64 v[14:15], v[14:15], v[16:17]
	v_add_f64 v[16:17], v[61:62], v[106:107]
	v_add_f64 v[20:21], v[18:19], v[20:21]
	v_add_f64 v[61:62], v[65:66], v[104:105]
	v_add_f64 v[65:66], v[88:89], v[80:81]
	v_fma_f64 v[80:81], v[254:255], s[30:31], -v[90:91]
	v_mov_b32_e32 v88, v120
	v_mov_b32_e32 v96, v128
	v_fma_f64 v[69:70], v[12:13], s[30:31], -v[36:37]
	v_fma_f64 v[36:37], v[12:13], s[30:31], v[36:37]
	v_mov_b32_e32 v89, v121
	v_mov_b32_e32 v90, v122
	;; [unrolled: 1-line block ×4, first 2 shown]
	v_add_f64 v[84:85], v[22:23], v[26:27]
	v_add_f64 v[12:13], v[82:83], v[20:21]
	;; [unrolled: 1-line block ×4, first 2 shown]
	v_mov_b32_e32 v92, v124
	v_mov_b32_e32 v97, v129
	;; [unrolled: 1-line block ×43, first 2 shown]
	buffer_load_dword v116, off, s[52:55], 0 offset:440 ; 4-byte Folded Reload
	buffer_load_dword v117, off, s[52:55], 0 offset:444 ; 4-byte Folded Reload
	;; [unrolled: 1-line block ×16, first 2 shown]
	v_add_f64 v[18:19], v[16:17], v[102:103]
	v_add_f64 v[16:17], v[61:62], v[100:101]
	buffer_load_dword v100, off, s[52:55], 0 offset:4 ; 4-byte Folded Reload
	buffer_load_dword v101, off, s[52:55], 0 offset:8 ; 4-byte Folded Reload
	;; [unrolled: 1-line block ×4, first 2 shown]
	v_add_f64 v[26:27], v[38:39], v[30:31]
	v_mov_b32_e32 v34, v2
	v_mov_b32_e32 v33, v1
	;; [unrolled: 1-line block ×3, first 2 shown]
	buffer_load_dword v30, off, s[52:55], 0 offset:316 ; 4-byte Folded Reload
	buffer_load_dword v0, off, s[52:55], 0 offset:488 ; 4-byte Folded Reload
	v_add_f64 v[14:15], v[69:70], v[14:15]
	v_mov_b32_e32 v149, v160
	v_mov_b32_e32 v150, v161
	;; [unrolled: 1-line block ×5, first 2 shown]
	v_add_f64 v[63:64], v[36:37], v[65:66]
	v_add_f64 v[61:62], v[80:81], v[84:85]
	v_mov_b32_e32 v161, v165
	v_mov_b32_e32 v162, v166
	;; [unrolled: 1-line block ×10, first 2 shown]
	s_waitcnt vmcnt(0)
	v_lshl_add_u32 v30, v30, 4, v0
	ds_write_b128 v30, v[16:19]
	ds_write_b128 v30, v[12:15] offset:16
	ds_write_b128 v30, v[26:29] offset:32
	;; [unrolled: 1-line block ×5, first 2 shown]
	buffer_load_dword v0, off, s[52:55], 0 offset:472 ; 4-byte Folded Reload
	buffer_load_dword v1, off, s[52:55], 0 offset:476 ; 4-byte Folded Reload
	;; [unrolled: 1-line block ×4, first 2 shown]
	s_waitcnt vmcnt(0)
	ds_write_b128 v30, v[0:3] offset:96
	buffer_load_dword v0, off, s[52:55], 0 offset:456 ; 4-byte Folded Reload
	buffer_load_dword v1, off, s[52:55], 0 offset:460 ; 4-byte Folded Reload
	;; [unrolled: 1-line block ×4, first 2 shown]
	s_waitcnt vmcnt(0)
	ds_write_b128 v30, v[0:3] offset:112
	ds_write_b128 v30, v[8:11] offset:128
	;; [unrolled: 1-line block ×6, first 2 shown]
.LBB0_13:
	s_or_b64 exec, exec, s[44:45]
	s_waitcnt lgkmcnt(0)
	; wave barrier
	s_waitcnt lgkmcnt(0)
	ds_read_b128 v[0:3], v176 offset:1456
	ds_read_b128 v[4:7], v176
	ds_read_b128 v[8:11], v176 offset:208
	ds_read_b128 v[12:15], v176 offset:2912
	;; [unrolled: 1-line block ×10, first 2 shown]
	s_waitcnt lgkmcnt(6)
	v_mul_f64 v[80:81], v[78:79], v[22:23]
	v_mul_f64 v[30:31], v[78:79], v[2:3]
	;; [unrolled: 1-line block ×8, first 2 shown]
	v_fma_f64 v[80:81], v[76:77], v[20:21], v[80:81]
	s_waitcnt lgkmcnt(5)
	v_mul_f64 v[20:21], v[94:95], v[28:29]
	ds_read_b128 v[61:64], v176 offset:2080
	ds_read_b128 v[65:68], v176 offset:2288
	v_fma_f64 v[30:31], v[76:77], v[0:1], v[30:31]
	v_fma_f64 v[36:37], v[76:77], v[2:3], -v[36:37]
	v_fma_f64 v[76:77], v[76:77], v[22:23], -v[78:79]
	v_mul_f64 v[22:23], v[94:95], v[26:27]
	v_fma_f64 v[38:39], v[72:73], v[12:13], v[38:39]
	v_fma_f64 v[69:70], v[72:73], v[14:15], -v[69:70]
	v_fma_f64 v[78:79], v[72:73], v[16:17], v[82:83]
	v_fma_f64 v[71:72], v[72:73], v[18:19], -v[74:75]
	s_waitcnt lgkmcnt(4)
	v_mul_f64 v[73:74], v[90:91], v[51:52]
	v_mul_f64 v[82:83], v[90:91], v[49:50]
	v_fma_f64 v[84:85], v[92:93], v[26:27], v[20:21]
	s_waitcnt lgkmcnt(1)
	v_mul_f64 v[26:27], v[102:103], v[63:64]
	v_fma_f64 v[86:87], v[92:93], v[28:29], -v[22:23]
	v_mul_f64 v[28:29], v[102:103], v[61:62]
	v_mul_f64 v[90:91], v[98:99], v[53:54]
	ds_read_b128 v[0:3], v176 offset:832
	ds_read_b128 v[12:15], v176 offset:1040
	v_fma_f64 v[73:74], v[88:89], v[49:50], v[73:74]
	v_fma_f64 v[82:83], v[88:89], v[51:52], -v[82:83]
	v_mul_f64 v[88:89], v[98:99], v[55:56]
	v_fma_f64 v[92:93], v[100:101], v[61:62], v[26:27]
	s_waitcnt lgkmcnt(2)
	v_mul_f64 v[61:62], v[110:111], v[67:68]
	ds_read_b128 v[16:19], v176 offset:3744
	ds_read_b128 v[20:23], v176 offset:3952
	v_fma_f64 v[63:64], v[100:101], v[63:64], -v[28:29]
	ds_read_b128 v[26:29], v176 offset:2496
	ds_read_b128 v[49:52], v176 offset:2704
	v_fma_f64 v[90:91], v[96:97], v[55:56], -v[90:91]
	v_mul_f64 v[94:95], v[110:111], v[65:66]
	v_fma_f64 v[88:89], v[96:97], v[53:54], v[88:89]
	s_waitcnt lgkmcnt(3)
	v_mul_f64 v[96:97], v[106:107], v[18:19]
	s_waitcnt lgkmcnt(1)
	v_mul_f64 v[102:103], v[118:119], v[28:29]
	v_fma_f64 v[177:178], v[108:109], v[65:66], v[61:62]
	v_mul_f64 v[61:62], v[118:119], v[26:27]
	v_mul_f64 v[98:99], v[106:107], v[16:17]
	ds_read_b128 v[53:56], v176 offset:4160
	v_mul_f64 v[65:66], v[114:115], v[22:23]
	v_fma_f64 v[94:95], v[108:109], v[67:68], -v[94:95]
	v_fma_f64 v[96:97], v[104:105], v[16:17], v[96:97]
	v_fma_f64 v[100:101], v[116:117], v[26:27], v[102:103]
	v_mul_f64 v[16:17], v[114:115], v[20:21]
	v_fma_f64 v[102:103], v[116:117], v[28:29], -v[61:62]
	buffer_load_dword v114, off, s[52:55], 0 offset:336 ; 4-byte Folded Reload
	buffer_load_dword v115, off, s[52:55], 0 offset:340 ; 4-byte Folded Reload
	;; [unrolled: 1-line block ×4, first 2 shown]
	v_fma_f64 v[98:99], v[104:105], v[18:19], -v[98:99]
	v_fma_f64 v[106:107], v[112:113], v[20:21], v[65:66]
	buffer_load_dword v65, off, s[52:55], 0 offset:320 ; 4-byte Folded Reload
	buffer_load_dword v66, off, s[52:55], 0 offset:324 ; 4-byte Folded Reload
	buffer_load_dword v67, off, s[52:55], 0 offset:328 ; 4-byte Folded Reload
	buffer_load_dword v68, off, s[52:55], 0 offset:332 ; 4-byte Folded Reload
	v_add_f64 v[26:27], v[30:31], v[38:39]
	s_mov_b32 s0, 0xe8584caa
	v_fma_f64 v[104:105], v[112:113], v[22:23], -v[16:17]
	v_add_f64 v[16:17], v[4:5], v[30:31]
	v_add_f64 v[22:23], v[36:37], -v[69:70]
	v_add_f64 v[30:31], v[30:31], -v[38:39]
	s_mov_b32 s1, 0xbfebb67a
	s_mov_b32 s3, 0x3febb67a
	s_mov_b32 s2, s0
	s_waitcnt lgkmcnt(0)
	; wave barrier
	s_waitcnt lgkmcnt(0)
	s_mov_b32 s12, 0xe976ee23
	s_mov_b32 s4, 0x429ad128
	;; [unrolled: 1-line block ×16, first 2 shown]
	s_waitcnt vmcnt(4)
	v_mul_f64 v[20:21], v[116:117], v[49:50]
	v_mul_f64 v[18:19], v[116:117], v[51:52]
	s_waitcnt vmcnt(0)
	v_mul_f64 v[28:29], v[67:68], v[55:56]
	v_mul_f64 v[61:62], v[67:68], v[53:54]
	v_add_f64 v[67:68], v[84:85], -v[73:74]
	v_fma_f64 v[110:111], v[114:115], v[51:52], -v[20:21]
	v_add_f64 v[20:21], v[36:37], v[69:70]
	v_fma_f64 v[108:109], v[114:115], v[49:50], v[18:19]
	v_fma_f64 v[18:19], v[26:27], -0.5, v[4:5]
	v_add_f64 v[26:27], v[6:7], v[36:37]
	v_fma_f64 v[114:115], v[65:66], v[53:54], v[28:29]
	v_add_f64 v[4:5], v[16:17], v[38:39]
	v_add_f64 v[28:29], v[80:81], v[78:79]
	;; [unrolled: 1-line block ×3, first 2 shown]
	v_fma_f64 v[36:37], v[20:21], -0.5, v[6:7]
	v_add_f64 v[49:50], v[76:77], -v[71:72]
	v_fma_f64 v[16:17], v[22:23], s[0:1], v[18:19]
	v_add_f64 v[6:7], v[26:27], v[69:70]
	v_add_f64 v[26:27], v[76:77], v[71:72]
	v_fma_f64 v[20:21], v[22:23], s[2:3], v[18:19]
	v_fma_f64 v[28:29], v[28:29], -0.5, v[8:9]
	v_add_f64 v[8:9], v[38:39], v[78:79]
	v_fma_f64 v[18:19], v[30:31], s[2:3], v[36:37]
	v_fma_f64 v[22:23], v[30:31], s[0:1], v[36:37]
	v_add_f64 v[30:31], v[10:11], v[76:77]
	v_add_f64 v[51:52], v[80:81], -v[78:79]
	v_fma_f64 v[38:39], v[26:27], -0.5, v[10:11]
	v_add_f64 v[36:37], v[84:85], v[73:74]
	v_fma_f64 v[26:27], v[49:50], s[0:1], v[28:29]
	v_fma_f64 v[49:50], v[49:50], s[2:3], v[28:29]
	v_add_f64 v[53:54], v[41:42], v[84:85]
	v_fma_f64 v[112:113], v[65:66], v[55:56], -v[61:62]
	v_add_f64 v[10:11], v[30:31], v[71:72]
	v_add_f64 v[30:31], v[86:87], v[82:83]
	v_fma_f64 v[28:29], v[51:52], s[2:3], v[38:39]
	v_fma_f64 v[51:52], v[51:52], s[0:1], v[38:39]
	ds_write_b128 v176, v[4:7]
	ds_write_b128 v176, v[16:19] offset:208
	ds_write_b128 v176, v[20:23] offset:416
	;; [unrolled: 1-line block ×5, first 2 shown]
	buffer_load_dword v4, off, s[52:55], 0 offset:352 ; 4-byte Folded Reload
	v_add_f64 v[38:39], v[43:44], v[86:87]
	v_fma_f64 v[36:37], v[36:37], -0.5, v[41:42]
	v_add_f64 v[55:56], v[86:87], -v[82:83]
	v_fma_f64 v[30:31], v[30:31], -0.5, v[43:44]
	v_add_f64 v[41:42], v[53:54], v[73:74]
	v_add_f64 v[71:72], v[63:64], -v[90:91]
	v_add_f64 v[73:74], v[47:48], v[63:64]
	v_add_f64 v[65:66], v[92:93], v[88:89]
	;; [unrolled: 1-line block ×4, first 2 shown]
	v_fma_f64 v[53:54], v[55:56], s[0:1], v[36:37]
	v_fma_f64 v[61:62], v[55:56], s[2:3], v[36:37]
	;; [unrolled: 1-line block ×4, first 2 shown]
	v_add_f64 v[36:37], v[45:46], v[92:93]
	v_fma_f64 v[69:70], v[65:66], -0.5, v[45:46]
	v_add_f64 v[30:31], v[177:178], v[96:97]
	v_add_f64 v[77:78], v[94:95], -v[98:99]
	v_add_f64 v[79:80], v[100:101], v[106:107]
	v_add_f64 v[75:76], v[0:1], v[177:178]
	v_add_f64 v[81:82], v[177:178], -v[96:97]
	v_add_f64 v[83:84], v[12:13], v[100:101]
	v_add_f64 v[45:46], v[36:37], v[88:89]
	v_fma_f64 v[36:37], v[38:39], -0.5, v[47:48]
	v_add_f64 v[38:39], v[92:93], -v[88:89]
	v_add_f64 v[47:48], v[73:74], v[90:91]
	v_fma_f64 v[65:66], v[71:72], s[0:1], v[69:70]
	v_fma_f64 v[69:70], v[71:72], s[2:3], v[69:70]
	v_add_f64 v[73:74], v[94:95], v[98:99]
	v_fma_f64 v[30:31], v[30:31], -0.5, v[0:1]
	v_fma_f64 v[85:86], v[79:80], -0.5, v[12:13]
	v_add_f64 v[87:88], v[102:103], -v[104:105]
	v_fma_f64 v[67:68], v[38:39], s[2:3], v[36:37]
	v_fma_f64 v[71:72], v[38:39], s[0:1], v[36:37]
	v_add_f64 v[36:37], v[2:3], v[94:95]
	v_add_f64 v[0:1], v[75:76], v[96:97]
	v_fma_f64 v[38:39], v[73:74], -0.5, v[2:3]
	v_fma_f64 v[73:74], v[77:78], s[0:1], v[30:31]
	v_fma_f64 v[77:78], v[77:78], s[2:3], v[30:31]
	v_add_f64 v[30:31], v[102:103], v[104:105]
	v_add_f64 v[12:13], v[83:84], v[106:107]
	v_add_f64 v[83:84], v[14:15], v[102:103]
	v_add_f64 v[2:3], v[36:37], v[98:99]
	v_add_f64 v[36:37], v[108:109], v[114:115]
	v_fma_f64 v[75:76], v[81:82], s[2:3], v[38:39]
	v_fma_f64 v[79:80], v[81:82], s[0:1], v[38:39]
	v_add_f64 v[38:39], v[110:111], v[112:113]
	v_fma_f64 v[81:82], v[87:88], s[0:1], v[85:86]
	v_fma_f64 v[85:86], v[87:88], s[2:3], v[85:86]
	v_fma_f64 v[30:31], v[30:31], -0.5, v[14:15]
	v_add_f64 v[87:88], v[100:101], -v[106:107]
	v_add_f64 v[89:90], v[57:58], v[108:109]
	v_add_f64 v[95:96], v[59:60], v[110:111]
	v_fma_f64 v[36:37], v[36:37], -0.5, v[57:58]
	v_add_f64 v[91:92], v[110:111], -v[112:113]
	v_fma_f64 v[38:39], v[38:39], -0.5, v[59:60]
	v_add_f64 v[97:98], v[108:109], -v[114:115]
	v_add_f64 v[14:15], v[83:84], v[104:105]
	v_fma_f64 v[83:84], v[87:88], s[2:3], v[30:31]
	v_fma_f64 v[87:88], v[87:88], s[0:1], v[30:31]
	v_add_f64 v[57:58], v[89:90], v[114:115]
	v_add_f64 v[59:60], v[95:96], v[112:113]
	s_waitcnt vmcnt(0)
	ds_write_b128 v4, v[41:44] offset:1248
	ds_write_b128 v4, v[53:56] offset:1456
	;; [unrolled: 1-line block ×3, first 2 shown]
	buffer_load_dword v4, off, s[52:55], 0 offset:360 ; 4-byte Folded Reload
	v_fma_f64 v[89:90], v[91:92], s[0:1], v[36:37]
	v_fma_f64 v[93:94], v[91:92], s[2:3], v[36:37]
	;; [unrolled: 1-line block ×4, first 2 shown]
	s_mov_b32 s2, 0x37e14327
	s_mov_b32 s0, 0x36b3c0b5
	;; [unrolled: 1-line block ×4, first 2 shown]
	s_waitcnt vmcnt(0)
	ds_write_b128 v4, v[45:48] offset:1872
	ds_write_b128 v4, v[65:68] offset:2080
	;; [unrolled: 1-line block ×3, first 2 shown]
	buffer_load_dword v4, off, s[52:55], 0 offset:368 ; 4-byte Folded Reload
	s_waitcnt vmcnt(0)
	ds_write_b128 v4, v[0:3] offset:2496
	ds_write_b128 v4, v[73:76] offset:2704
	;; [unrolled: 1-line block ×9, first 2 shown]
	s_waitcnt lgkmcnt(0)
	; wave barrier
	s_waitcnt lgkmcnt(0)
	ds_read_b128 v[0:3], v176
	ds_read_b128 v[4:7], v176 offset:208
	ds_read_b128 v[8:11], v176 offset:1248
	;; [unrolled: 1-line block ×20, first 2 shown]
	buffer_load_dword v106, off, s[52:55], 0 offset:376 ; 4-byte Folded Reload
	buffer_load_dword v107, off, s[52:55], 0 offset:380 ; 4-byte Folded Reload
	;; [unrolled: 1-line block ×4, first 2 shown]
	s_waitcnt lgkmcnt(12)
	v_mul_f64 v[30:31], v[139:140], v[42:43]
	v_mul_f64 v[92:93], v[139:140], v[40:41]
	s_waitcnt lgkmcnt(8)
	v_mul_f64 v[94:95], v[126:127], v[58:59]
	v_mul_f64 v[96:97], v[126:127], v[56:57]
	;; [unrolled: 1-line block ×4, first 2 shown]
	s_waitcnt lgkmcnt(4)
	v_mul_f64 v[102:103], v[162:163], v[74:75]
	v_mul_f64 v[104:105], v[162:163], v[72:73]
	v_fma_f64 v[30:31], v[137:138], v[40:41], v[30:31]
	v_fma_f64 v[40:41], v[137:138], v[42:43], -v[92:93]
	v_mul_f64 v[42:43], v[131:132], v[10:11]
	v_mul_f64 v[92:93], v[131:132], v[8:9]
	v_fma_f64 v[16:17], v[120:121], v[16:17], v[98:99]
	v_fma_f64 v[18:19], v[120:121], v[18:19], -v[100:101]
	;; [unrolled: 4-line block ×3, first 2 shown]
	v_fma_f64 v[42:43], v[124:125], v[56:57], v[94:95]
	v_fma_f64 v[56:57], v[124:125], v[58:59], -v[96:97]
	v_fma_f64 v[58:59], v[160:161], v[72:73], v[102:103]
	v_fma_f64 v[72:73], v[160:161], v[74:75], -v[104:105]
	v_mul_f64 v[74:75], v[135:136], v[28:29]
	v_mul_f64 v[92:93], v[135:136], v[26:27]
	;; [unrolled: 1-line block ×4, first 2 shown]
	v_fma_f64 v[26:27], v[133:134], v[26:27], v[74:75]
	v_fma_f64 v[28:29], v[133:134], v[28:29], -v[92:93]
	v_fma_f64 v[74:75], v[149:150], v[12:13], v[98:99]
	v_fma_f64 v[92:93], v[149:150], v[14:15], -v[100:101]
	v_mul_f64 v[12:13], v[143:144], v[22:23]
	v_mul_f64 v[14:15], v[143:144], v[20:21]
	v_fma_f64 v[64:65], v[145:146], v[64:65], v[102:103]
	v_mul_f64 v[102:103], v[186:187], v[54:55]
	v_fma_f64 v[66:67], v[145:146], v[66:67], -v[104:105]
	v_mul_f64 v[98:99], v[166:167], v[38:39]
	v_mul_f64 v[104:105], v[186:187], v[52:53]
	;; [unrolled: 1-line block ×3, first 2 shown]
	v_fma_f64 v[36:37], v[164:165], v[36:37], v[98:99]
	s_waitcnt lgkmcnt(1)
	v_mul_f64 v[98:99], v[190:191], v[84:85]
	v_fma_f64 v[38:39], v[164:165], v[38:39], -v[100:101]
	s_waitcnt vmcnt(0)
	v_mul_f64 v[94:95], v[108:109], v[50:51]
	v_mul_f64 v[96:97], v[108:109], v[48:49]
	v_fma_f64 v[108:109], v[141:142], v[22:23], -v[14:15]
	v_mul_f64 v[22:23], v[174:175], v[68:69]
	v_mul_f64 v[14:15], v[182:183], v[60:61]
	v_fma_f64 v[48:49], v[106:107], v[48:49], v[94:95]
	v_fma_f64 v[50:51], v[106:107], v[50:51], -v[96:97]
	v_mul_f64 v[94:95], v[34:35], v[82:83]
	v_mul_f64 v[96:97], v[34:35], v[80:81]
	v_fma_f64 v[106:107], v[141:142], v[20:21], v[12:13]
	v_mul_f64 v[20:21], v[174:175], v[70:71]
	v_mul_f64 v[34:35], v[170:171], v[78:79]
	v_fma_f64 v[70:71], v[172:173], v[70:71], -v[22:23]
	v_add_f64 v[22:23], v[40:41], v[28:29]
	v_add_f64 v[28:29], v[40:41], -v[28:29]
	v_fma_f64 v[80:81], v[32:33], v[80:81], v[94:95]
	v_fma_f64 v[82:83], v[32:33], v[82:83], -v[96:97]
	v_fma_f64 v[94:95], v[184:185], v[52:53], v[102:103]
	v_mul_f64 v[52:53], v[170:171], v[76:77]
	v_fma_f64 v[68:69], v[172:173], v[68:69], v[20:21]
	v_add_f64 v[20:21], v[30:31], v[26:27]
	v_add_f64 v[26:27], v[30:31], -v[26:27]
	v_add_f64 v[30:31], v[8:9], v[58:59]
	v_add_f64 v[32:33], v[10:11], v[72:73]
	v_fma_f64 v[96:97], v[184:185], v[54:55], -v[104:105]
	v_mul_f64 v[54:55], v[190:191], v[86:87]
	v_fma_f64 v[76:77], v[168:169], v[76:77], v[34:35]
	v_fma_f64 v[78:79], v[168:169], v[78:79], -v[52:53]
	v_add_f64 v[8:9], v[8:9], -v[58:59]
	v_add_f64 v[10:11], v[10:11], -v[72:73]
	v_add_f64 v[34:35], v[42:43], v[16:17]
	v_add_f64 v[40:41], v[56:57], v[18:19]
	v_add_f64 v[16:17], v[16:17], -v[42:43]
	v_add_f64 v[18:19], v[18:19], -v[56:57]
	v_add_f64 v[42:43], v[30:31], v[20:21]
	v_add_f64 v[52:53], v[32:33], v[22:23]
	v_fma_f64 v[84:85], v[188:189], v[84:85], v[54:55]
	v_fma_f64 v[86:87], v[188:189], v[86:87], -v[98:99]
	v_add_f64 v[54:55], v[30:31], -v[20:21]
	v_add_f64 v[56:57], v[32:33], -v[22:23]
	;; [unrolled: 1-line block ×6, first 2 shown]
	v_add_f64 v[58:59], v[16:17], v[8:9]
	v_add_f64 v[72:73], v[18:19], v[10:11]
	v_add_f64 v[98:99], v[16:17], -v[8:9]
	v_add_f64 v[100:101], v[18:19], -v[10:11]
	v_add_f64 v[34:35], v[34:35], v[42:43]
	v_add_f64 v[40:41], v[40:41], v[52:53]
	v_add_f64 v[8:9], v[8:9], -v[26:27]
	v_add_f64 v[10:11], v[10:11], -v[28:29]
	;; [unrolled: 1-line block ×4, first 2 shown]
	v_add_f64 v[26:27], v[58:59], v[26:27]
	v_add_f64 v[28:29], v[72:73], v[28:29]
	;; [unrolled: 1-line block ×4, first 2 shown]
	v_mul_f64 v[20:21], v[20:21], s[2:3]
	v_mul_f64 v[22:23], v[22:23], s[2:3]
	;; [unrolled: 1-line block ×9, first 2 shown]
	v_fma_f64 v[34:35], v[34:35], s[14:15], v[0:1]
	v_fma_f64 v[40:41], v[40:41], s[14:15], v[2:3]
	;; [unrolled: 1-line block ×4, first 2 shown]
	v_fma_f64 v[42:43], v[54:55], s[16:17], -v[42:43]
	v_fma_f64 v[52:53], v[56:57], s[16:17], -v[52:53]
	;; [unrolled: 1-line block ×4, first 2 shown]
	v_fma_f64 v[54:55], v[16:17], s[20:21], v[58:59]
	v_fma_f64 v[56:57], v[18:19], s[20:21], v[72:73]
	v_fma_f64 v[8:9], v[8:9], s[4:5], -v[58:59]
	v_fma_f64 v[10:11], v[10:11], s[4:5], -v[72:73]
	;; [unrolled: 1-line block ×4, first 2 shown]
	v_fma_f64 v[60:61], v[180:181], v[60:61], v[12:13]
	v_fma_f64 v[62:63], v[180:181], v[62:63], -v[14:15]
	s_waitcnt lgkmcnt(0)
	v_mul_f64 v[12:13], v[155:156], v[90:91]
	v_mul_f64 v[14:15], v[155:156], v[88:89]
	v_add_f64 v[30:31], v[30:31], v[34:35]
	v_add_f64 v[58:59], v[32:33], v[40:41]
	;; [unrolled: 1-line block ×6, first 2 shown]
	v_fma_f64 v[52:53], v[28:29], s[22:23], v[56:57]
	v_fma_f64 v[56:57], v[28:29], s[22:23], v[18:19]
	;; [unrolled: 1-line block ×7, first 2 shown]
	v_fma_f64 v[90:91], v[153:154], v[90:91], -v[14:15]
	v_add_f64 v[8:9], v[52:53], v[30:31]
	v_add_f64 v[12:13], v[56:57], v[34:35]
	v_add_f64 v[14:15], v[40:41], -v[72:73]
	v_add_f64 v[16:17], v[32:33], -v[20:21]
	v_add_f64 v[18:19], v[22:23], v[42:43]
	v_add_f64 v[20:21], v[20:21], v[32:33]
	v_add_f64 v[22:23], v[42:43], -v[22:23]
	v_add_f64 v[26:27], v[34:35], -v[56:57]
	v_add_f64 v[28:29], v[72:73], v[40:41]
	v_add_f64 v[32:33], v[48:49], v[36:37]
	;; [unrolled: 1-line block ×5, first 2 shown]
	v_add_f64 v[36:37], v[48:49], -v[36:37]
	v_add_f64 v[38:39], v[50:51], -v[38:39]
	;; [unrolled: 1-line block ×4, first 2 shown]
	v_add_f64 v[56:57], v[64:65], v[106:107]
	v_add_f64 v[72:73], v[66:67], v[108:109]
	v_add_f64 v[64:65], v[106:107], -v[64:65]
	v_add_f64 v[66:67], v[108:109], -v[66:67]
	v_add_f64 v[74:75], v[40:41], v[32:33]
	v_add_f64 v[80:81], v[42:43], v[34:35]
	v_add_f64 v[82:83], v[40:41], -v[32:33]
	v_add_f64 v[92:93], v[42:43], -v[34:35]
	;; [unrolled: 1-line block ×6, first 2 shown]
	v_add_f64 v[98:99], v[64:65], v[48:49]
	v_add_f64 v[100:101], v[66:67], v[50:51]
	v_add_f64 v[102:103], v[64:65], -v[48:49]
	v_add_f64 v[104:105], v[66:67], -v[50:51]
	v_add_f64 v[56:57], v[56:57], v[74:75]
	v_add_f64 v[72:73], v[72:73], v[80:81]
	v_add_f64 v[48:49], v[48:49], -v[36:37]
	v_add_f64 v[50:51], v[50:51], -v[38:39]
	;; [unrolled: 1-line block ×4, first 2 shown]
	v_add_f64 v[36:37], v[98:99], v[36:37]
	v_add_f64 v[38:39], v[100:101], v[38:39]
	;; [unrolled: 1-line block ×4, first 2 shown]
	v_mul_f64 v[32:33], v[32:33], s[2:3]
	v_mul_f64 v[34:35], v[34:35], s[2:3]
	;; [unrolled: 1-line block ×8, first 2 shown]
	v_fma_f64 v[56:57], v[56:57], s[14:15], v[4:5]
	v_fma_f64 v[72:73], v[72:73], s[14:15], v[6:7]
	;; [unrolled: 1-line block ×4, first 2 shown]
	v_fma_f64 v[74:75], v[82:83], s[16:17], -v[74:75]
	v_fma_f64 v[80:81], v[92:93], s[16:17], -v[80:81]
	;; [unrolled: 1-line block ×4, first 2 shown]
	v_fma_f64 v[82:83], v[64:65], s[20:21], v[98:99]
	v_fma_f64 v[92:93], v[66:67], s[20:21], v[100:101]
	v_fma_f64 v[48:49], v[48:49], s[4:5], -v[98:99]
	v_fma_f64 v[64:65], v[64:65], s[24:25], -v[102:103]
	;; [unrolled: 1-line block ×4, first 2 shown]
	v_add_f64 v[98:99], v[40:41], v[56:57]
	v_add_f64 v[100:101], v[42:43], v[72:73]
	;; [unrolled: 1-line block ×6, first 2 shown]
	v_fma_f64 v[66:67], v[38:39], s[22:23], v[66:67]
	v_fma_f64 v[64:65], v[36:37], s[22:23], v[64:65]
	;; [unrolled: 1-line block ×3, first 2 shown]
	v_add_f64 v[10:11], v[58:59], -v[54:55]
	v_fma_f64 v[92:93], v[38:39], s[22:23], v[92:93]
	v_fma_f64 v[102:103], v[38:39], s[22:23], v[50:51]
	v_add_f64 v[33:34], v[54:55], v[58:59]
	v_add_f64 v[31:32], v[30:31], -v[52:53]
	v_add_f64 v[39:40], v[66:67], v[56:57]
	v_add_f64 v[41:42], v[72:73], -v[64:65]
	v_add_f64 v[50:51], v[104:105], v[80:81]
	v_add_f64 v[54:55], v[80:81], -v[104:105]
	v_add_f64 v[56:57], v[56:57], -v[66:67]
	v_add_f64 v[58:59], v[64:65], v[72:73]
	v_add_f64 v[64:65], v[94:95], v[88:89]
	v_add_f64 v[66:67], v[96:97], v[90:91]
	v_add_f64 v[72:73], v[94:95], -v[88:89]
	v_add_f64 v[80:81], v[60:61], v[84:85]
	v_add_f64 v[88:89], v[62:63], v[86:87]
	v_add_f64 v[48:49], v[74:75], -v[102:103]
	v_add_f64 v[52:53], v[102:103], v[74:75]
	v_add_f64 v[74:75], v[96:97], -v[90:91]
	v_add_f64 v[60:61], v[60:61], -v[84:85]
	;; [unrolled: 1-line block ×3, first 2 shown]
	v_add_f64 v[84:85], v[68:69], v[76:77]
	v_add_f64 v[86:87], v[70:71], v[78:79]
	v_add_f64 v[68:69], v[76:77], -v[68:69]
	v_add_f64 v[70:71], v[78:79], -v[70:71]
	v_add_f64 v[76:77], v[80:81], v[64:65]
	v_add_f64 v[78:79], v[88:89], v[66:67]
	v_add_f64 v[90:91], v[80:81], -v[64:65]
	v_add_f64 v[94:95], v[88:89], -v[66:67]
	;; [unrolled: 1-line block ×6, first 2 shown]
	v_add_f64 v[96:97], v[68:69], v[60:61]
	v_add_f64 v[102:103], v[70:71], v[62:63]
	v_add_f64 v[104:105], v[68:69], -v[60:61]
	v_add_f64 v[106:107], v[70:71], -v[62:63]
	v_add_f64 v[76:77], v[84:85], v[76:77]
	v_add_f64 v[78:79], v[86:87], v[78:79]
	v_add_f64 v[60:61], v[60:61], -v[72:73]
	v_add_f64 v[62:63], v[62:63], -v[74:75]
	;; [unrolled: 1-line block ×4, first 2 shown]
	v_add_f64 v[72:73], v[96:97], v[72:73]
	v_add_f64 v[74:75], v[102:103], v[74:75]
	;; [unrolled: 1-line block ×4, first 2 shown]
	v_mul_f64 v[64:65], v[64:65], s[2:3]
	v_mul_f64 v[66:67], v[66:67], s[2:3]
	v_mul_f64 v[84:85], v[80:81], s[0:1]
	v_mul_f64 v[86:87], v[88:89], s[0:1]
	v_mul_f64 v[96:97], v[104:105], s[12:13]
	v_mul_f64 v[102:103], v[106:107], s[12:13]
	v_mul_f64 v[104:105], v[60:61], s[4:5]
	v_mul_f64 v[106:107], v[62:63], s[4:5]
	v_fma_f64 v[76:77], v[76:77], s[14:15], v[43:44]
	v_fma_f64 v[78:79], v[78:79], s[14:15], v[45:46]
	;; [unrolled: 1-line block ×4, first 2 shown]
	v_fma_f64 v[84:85], v[90:91], s[16:17], -v[84:85]
	v_fma_f64 v[86:87], v[94:95], s[16:17], -v[86:87]
	;; [unrolled: 1-line block ×4, first 2 shown]
	v_fma_f64 v[90:91], v[68:69], s[20:21], v[96:97]
	v_fma_f64 v[94:95], v[70:71], s[20:21], v[102:103]
	v_fma_f64 v[60:61], v[60:61], s[4:5], -v[96:97]
	v_fma_f64 v[62:63], v[62:63], s[4:5], -v[102:103]
	;; [unrolled: 1-line block ×4, first 2 shown]
	v_fma_f64 v[82:83], v[36:37], s[22:23], v[82:83]
	v_add_f64 v[96:97], v[80:81], v[76:77]
	v_add_f64 v[88:89], v[88:89], v[78:79]
	;; [unrolled: 1-line block ×6, first 2 shown]
	v_fma_f64 v[94:95], v[74:75], s[22:23], v[94:95]
	v_fma_f64 v[90:91], v[72:73], s[22:23], v[90:91]
	v_fma_f64 v[104:105], v[74:75], s[22:23], v[70:71]
	v_fma_f64 v[106:107], v[72:73], s[22:23], v[68:69]
	v_fma_f64 v[76:77], v[74:75], s[22:23], v[62:63]
	v_fma_f64 v[78:79], v[72:73], s[22:23], v[60:61]
	v_add_f64 v[35:36], v[92:93], v[98:99]
	v_add_f64 v[37:38], v[100:101], -v[82:83]
	v_add_f64 v[60:61], v[98:99], -v[92:93]
	v_add_f64 v[62:63], v[82:83], v[100:101]
	v_add_f64 v[64:65], v[94:95], v[96:97]
	v_add_f64 v[66:67], v[88:89], -v[90:91]
	v_add_f64 v[68:69], v[104:105], v[86:87]
	v_add_f64 v[70:71], v[102:103], -v[106:107]
	v_add_f64 v[72:73], v[80:81], -v[76:77]
	v_add_f64 v[74:75], v[78:79], v[84:85]
	v_add_f64 v[76:77], v[76:77], v[80:81]
	v_add_f64 v[78:79], v[84:85], -v[78:79]
	v_add_f64 v[80:81], v[86:87], -v[104:105]
	v_add_f64 v[82:83], v[106:107], v[102:103]
	v_add_f64 v[84:85], v[96:97], -v[94:95]
	v_add_f64 v[86:87], v[90:91], v[88:89]
	ds_write_b128 v176, v[0:3]
	ds_write_b128 v176, v[8:11] offset:624
	ds_write_b128 v176, v[12:15] offset:1248
	;; [unrolled: 1-line block ×20, first 2 shown]
	s_waitcnt lgkmcnt(0)
	; wave barrier
	s_waitcnt lgkmcnt(0)
	ds_read_b128 v[0:3], v176
	buffer_load_dword v4, off, s[52:55], 0 offset:100 ; 4-byte Folded Reload
	buffer_load_dword v5, off, s[52:55], 0 offset:104 ; 4-byte Folded Reload
	s_mov_b32 s2, 0x1e01e01e
	s_mov_b32 s3, 0x3f6e01e0
	s_waitcnt vmcnt(1)
	v_mov_b32_e32 v14, v4
	s_waitcnt vmcnt(0)
	ds_read_b128 v[4:7], v176 offset:336
	buffer_load_dword v16, off, s[52:55], 0 offset:300 ; 4-byte Folded Reload
	buffer_load_dword v17, off, s[52:55], 0 offset:304 ; 4-byte Folded Reload
	;; [unrolled: 1-line block ×4, first 2 shown]
	buffer_load_dword v31, off, s[52:55], 0 ; 4-byte Folded Reload
	v_mad_u64_u32 v[12:13], s[0:1], s10, v14, 0
	v_mad_u64_u32 v[13:14], s[0:1], s11, v14, v[13:14]
	s_waitcnt vmcnt(1) lgkmcnt(1)
	v_mul_f64 v[8:9], v[18:19], v[2:3]
	v_mul_f64 v[10:11], v[18:19], v[0:1]
	buffer_load_dword v18, off, s[52:55], 0 offset:268 ; 4-byte Folded Reload
	buffer_load_dword v19, off, s[52:55], 0 offset:272 ; 4-byte Folded Reload
	buffer_load_dword v20, off, s[52:55], 0 offset:276 ; 4-byte Folded Reload
	buffer_load_dword v21, off, s[52:55], 0 offset:280 ; 4-byte Folded Reload
	s_waitcnt vmcnt(4)
	v_mad_u64_u32 v[14:15], s[0:1], s8, v31, 0
	v_fma_f64 v[0:1], v[16:17], v[0:1], v[8:9]
	v_mov_b32_e32 v8, v15
	v_fma_f64 v[2:3], v[16:17], v[2:3], -v[10:11]
	v_mad_u64_u32 v[15:16], s[0:1], s9, v31, v[8:9]
	v_mul_f64 v[8:9], v[0:1], s[2:3]
	v_lshlrev_b64 v[0:1], 4, v[12:13]
	v_mul_f64 v[10:11], v[2:3], s[2:3]
	v_mov_b32_e32 v3, s7
	v_add_co_u32_e64 v2, s[0:1], s6, v0
	v_addc_co_u32_e64 v3, s[0:1], v3, v1, s[0:1]
	v_lshlrev_b64 v[0:1], 4, v[14:15]
	v_add_co_u32_e64 v0, s[0:1], v2, v0
	v_addc_co_u32_e64 v1, s[0:1], v3, v1, s[0:1]
	global_store_dwordx4 v[0:1], v[8:11], off
	s_mul_i32 s0, s9, 21
	s_mul_hi_u32 s1, s8, 21
	s_add_i32 s1, s1, s0
	s_mul_i32 s0, s8, 21
	s_lshl_b64 s[4:5], s[0:1], 4
	v_mov_b32_e32 v30, s5
	v_add_co_u32_e64 v0, s[0:1], s4, v0
	v_addc_co_u32_e64 v1, s[0:1], v1, v30, s[0:1]
	s_waitcnt vmcnt(1) lgkmcnt(0)
	v_mul_f64 v[12:13], v[20:21], v[6:7]
	v_mul_f64 v[16:17], v[20:21], v[4:5]
	v_fma_f64 v[12:13], v[18:19], v[4:5], v[12:13]
	v_fma_f64 v[14:15], v[18:19], v[6:7], -v[16:17]
	ds_read_b128 v[4:7], v176 offset:672
	v_mul_f64 v[8:9], v[12:13], s[2:3]
	v_mul_f64 v[10:11], v[14:15], s[2:3]
	ds_read_b128 v[12:15], v176 offset:1008
	buffer_load_dword v20, off, s[52:55], 0 offset:284 ; 4-byte Folded Reload
	buffer_load_dword v21, off, s[52:55], 0 offset:288 ; 4-byte Folded Reload
	;; [unrolled: 1-line block ×4, first 2 shown]
	s_waitcnt vmcnt(0) lgkmcnt(1)
	v_mul_f64 v[16:17], v[22:23], v[6:7]
	v_mul_f64 v[18:19], v[22:23], v[4:5]
	v_fma_f64 v[4:5], v[20:21], v[4:5], v[16:17]
	v_fma_f64 v[6:7], v[20:21], v[6:7], -v[18:19]
	buffer_load_dword v20, off, s[52:55], 0 offset:204 ; 4-byte Folded Reload
	buffer_load_dword v21, off, s[52:55], 0 offset:208 ; 4-byte Folded Reload
	;; [unrolled: 1-line block ×4, first 2 shown]
	v_mul_f64 v[4:5], v[4:5], s[2:3]
	global_store_dwordx4 v[0:1], v[8:11], off
	ds_read_b128 v[8:11], v176 offset:1344
	v_mul_f64 v[6:7], v[6:7], s[2:3]
	v_add_co_u32_e64 v0, s[0:1], s4, v0
	v_addc_co_u32_e64 v1, s[0:1], v1, v30, s[0:1]
	s_waitcnt vmcnt(1) lgkmcnt(1)
	v_mul_f64 v[16:17], v[22:23], v[14:15]
	v_mul_f64 v[18:19], v[22:23], v[12:13]
	v_fma_f64 v[16:17], v[20:21], v[12:13], v[16:17]
	v_fma_f64 v[18:19], v[20:21], v[14:15], -v[18:19]
	ds_read_b128 v[12:15], v176 offset:1680
	buffer_load_dword v26, off, s[52:55], 0 offset:252 ; 4-byte Folded Reload
	buffer_load_dword v27, off, s[52:55], 0 offset:256 ; 4-byte Folded Reload
	;; [unrolled: 1-line block ×4, first 2 shown]
	s_waitcnt vmcnt(0) lgkmcnt(1)
	v_mul_f64 v[20:21], v[28:29], v[10:11]
	v_mul_f64 v[22:23], v[28:29], v[8:9]
	global_store_dwordx4 v[0:1], v[4:7], off
	v_add_co_u32_e64 v0, s[0:1], s4, v0
	v_mul_f64 v[4:5], v[16:17], s[2:3]
	v_mul_f64 v[6:7], v[18:19], s[2:3]
	v_addc_co_u32_e64 v1, s[0:1], v1, v30, s[0:1]
	v_fma_f64 v[8:9], v[26:27], v[8:9], v[20:21]
	v_fma_f64 v[16:17], v[26:27], v[10:11], -v[22:23]
	buffer_load_dword v26, off, s[52:55], 0 offset:188 ; 4-byte Folded Reload
	buffer_load_dword v27, off, s[52:55], 0 offset:192 ; 4-byte Folded Reload
	;; [unrolled: 1-line block ×4, first 2 shown]
	s_waitcnt vmcnt(0) lgkmcnt(0)
	v_mul_f64 v[18:19], v[28:29], v[14:15]
	v_mul_f64 v[20:21], v[28:29], v[12:13]
	global_store_dwordx4 v[0:1], v[4:7], off
	v_add_co_u32_e64 v0, s[0:1], s4, v0
	v_mul_f64 v[4:5], v[8:9], s[2:3]
	ds_read_b128 v[8:11], v176 offset:2016
	v_mul_f64 v[6:7], v[16:17], s[2:3]
	v_fma_f64 v[16:17], v[26:27], v[12:13], v[18:19]
	v_fma_f64 v[18:19], v[26:27], v[14:15], -v[20:21]
	ds_read_b128 v[12:15], v176 offset:2352
	buffer_load_dword v26, off, s[52:55], 0 offset:236 ; 4-byte Folded Reload
	buffer_load_dword v27, off, s[52:55], 0 offset:240 ; 4-byte Folded Reload
	;; [unrolled: 1-line block ×4, first 2 shown]
	v_addc_co_u32_e64 v1, s[0:1], v1, v30, s[0:1]
	global_store_dwordx4 v[0:1], v[4:7], off
	s_nop 0
	v_mul_f64 v[4:5], v[16:17], s[2:3]
	v_mul_f64 v[6:7], v[18:19], s[2:3]
	v_add_co_u32_e64 v0, s[0:1], s4, v0
	v_addc_co_u32_e64 v1, s[0:1], v1, v30, s[0:1]
	s_waitcnt vmcnt(1) lgkmcnt(1)
	v_mul_f64 v[20:21], v[28:29], v[10:11]
	v_mul_f64 v[22:23], v[28:29], v[8:9]
	v_fma_f64 v[8:9], v[26:27], v[8:9], v[20:21]
	v_fma_f64 v[16:17], v[26:27], v[10:11], -v[22:23]
	buffer_load_dword v26, off, s[52:55], 0 offset:156 ; 4-byte Folded Reload
	buffer_load_dword v27, off, s[52:55], 0 offset:160 ; 4-byte Folded Reload
	;; [unrolled: 1-line block ×4, first 2 shown]
	s_waitcnt vmcnt(0) lgkmcnt(0)
	v_mul_f64 v[18:19], v[28:29], v[14:15]
	v_mul_f64 v[20:21], v[28:29], v[12:13]
	global_store_dwordx4 v[0:1], v[4:7], off
	v_add_co_u32_e64 v0, s[0:1], s4, v0
	v_mul_f64 v[4:5], v[8:9], s[2:3]
	ds_read_b128 v[8:11], v176 offset:2688
	v_mul_f64 v[6:7], v[16:17], s[2:3]
	v_fma_f64 v[16:17], v[26:27], v[12:13], v[18:19]
	v_fma_f64 v[18:19], v[26:27], v[14:15], -v[20:21]
	ds_read_b128 v[12:15], v176 offset:3024
	buffer_load_dword v26, off, s[52:55], 0 offset:220 ; 4-byte Folded Reload
	buffer_load_dword v27, off, s[52:55], 0 offset:224 ; 4-byte Folded Reload
	;; [unrolled: 1-line block ×4, first 2 shown]
	v_addc_co_u32_e64 v1, s[0:1], v1, v30, s[0:1]
	global_store_dwordx4 v[0:1], v[4:7], off
	s_nop 0
	v_mul_f64 v[4:5], v[16:17], s[2:3]
	v_mul_f64 v[6:7], v[18:19], s[2:3]
	v_add_co_u32_e64 v0, s[0:1], s4, v0
	v_addc_co_u32_e64 v1, s[0:1], v1, v30, s[0:1]
	s_waitcnt vmcnt(1) lgkmcnt(1)
	v_mul_f64 v[20:21], v[28:29], v[10:11]
	v_mul_f64 v[22:23], v[28:29], v[8:9]
	v_fma_f64 v[8:9], v[26:27], v[8:9], v[20:21]
	v_fma_f64 v[16:17], v[26:27], v[10:11], -v[22:23]
	buffer_load_dword v26, off, s[52:55], 0 offset:124 ; 4-byte Folded Reload
	buffer_load_dword v27, off, s[52:55], 0 offset:128 ; 4-byte Folded Reload
	;; [unrolled: 1-line block ×4, first 2 shown]
	s_waitcnt vmcnt(0) lgkmcnt(0)
	v_mul_f64 v[18:19], v[28:29], v[14:15]
	v_mul_f64 v[20:21], v[28:29], v[12:13]
	global_store_dwordx4 v[0:1], v[4:7], off
	v_add_co_u32_e64 v0, s[0:1], s4, v0
	v_mul_f64 v[4:5], v[8:9], s[2:3]
	v_mul_f64 v[6:7], v[16:17], s[2:3]
	ds_read_b128 v[8:11], v176 offset:3360
	v_fma_f64 v[16:17], v[26:27], v[12:13], v[18:19]
	v_fma_f64 v[18:19], v[26:27], v[14:15], -v[20:21]
	ds_read_b128 v[12:15], v176 offset:3696
	buffer_load_dword v26, off, s[52:55], 0 offset:140 ; 4-byte Folded Reload
	buffer_load_dword v27, off, s[52:55], 0 offset:144 ; 4-byte Folded Reload
	buffer_load_dword v28, off, s[52:55], 0 offset:148 ; 4-byte Folded Reload
	buffer_load_dword v29, off, s[52:55], 0 offset:152 ; 4-byte Folded Reload
	v_addc_co_u32_e64 v1, s[0:1], v1, v30, s[0:1]
	global_store_dwordx4 v[0:1], v[4:7], off
	v_add_co_u32_e64 v0, s[0:1], s4, v0
	v_mul_f64 v[4:5], v[16:17], s[2:3]
	v_mul_f64 v[6:7], v[18:19], s[2:3]
	ds_read_b128 v[16:19], v176 offset:4032
	buffer_load_dword v32, off, s[52:55], 0 offset:108 ; 4-byte Folded Reload
	buffer_load_dword v33, off, s[52:55], 0 offset:112 ; 4-byte Folded Reload
	buffer_load_dword v34, off, s[52:55], 0 offset:116 ; 4-byte Folded Reload
	buffer_load_dword v35, off, s[52:55], 0 offset:120 ; 4-byte Folded Reload
	v_addc_co_u32_e64 v1, s[0:1], v1, v30, s[0:1]
	s_waitcnt vmcnt(5) lgkmcnt(2)
	v_mul_f64 v[20:21], v[28:29], v[10:11]
	v_mul_f64 v[22:23], v[28:29], v[8:9]
	v_fma_f64 v[8:9], v[26:27], v[8:9], v[20:21]
	v_fma_f64 v[10:11], v[26:27], v[10:11], -v[22:23]
	s_waitcnt vmcnt(0) lgkmcnt(1)
	v_mul_f64 v[20:21], v[34:35], v[14:15]
	v_mul_f64 v[22:23], v[34:35], v[12:13]
	buffer_load_dword v34, off, s[52:55], 0 offset:172 ; 4-byte Folded Reload
	buffer_load_dword v35, off, s[52:55], 0 offset:176 ; 4-byte Folded Reload
	;; [unrolled: 1-line block ×4, first 2 shown]
	s_waitcnt vmcnt(0) lgkmcnt(0)
	v_mul_f64 v[26:27], v[36:37], v[18:19]
	v_mul_f64 v[28:29], v[36:37], v[16:17]
	global_store_dwordx4 v[0:1], v[4:7], off
	v_add_co_u32_e64 v0, s[0:1], s4, v0
	v_mul_f64 v[4:5], v[8:9], s[2:3]
	v_mul_f64 v[6:7], v[10:11], s[2:3]
	v_fma_f64 v[8:9], v[32:33], v[12:13], v[20:21]
	v_fma_f64 v[10:11], v[32:33], v[14:15], -v[22:23]
	v_fma_f64 v[12:13], v[34:35], v[16:17], v[26:27]
	v_fma_f64 v[14:15], v[34:35], v[18:19], -v[28:29]
	v_addc_co_u32_e64 v1, s[0:1], v1, v30, s[0:1]
	global_store_dwordx4 v[0:1], v[4:7], off
	v_mul_f64 v[8:9], v[8:9], s[2:3]
	v_mul_f64 v[10:11], v[10:11], s[2:3]
	;; [unrolled: 1-line block ×4, first 2 shown]
	v_add_co_u32_e64 v0, s[0:1], s4, v0
	v_addc_co_u32_e64 v1, s[0:1], v1, v30, s[0:1]
	global_store_dwordx4 v[0:1], v[8:11], off
	v_add_co_u32_e64 v0, s[0:1], s4, v0
	v_addc_co_u32_e64 v1, s[0:1], v1, v30, s[0:1]
	global_store_dwordx4 v[0:1], v[4:7], off
	s_and_b64 exec, exec, vcc
	s_cbranch_execz .LBB0_15
; %bb.14:
	global_load_dwordx4 v[4:7], v[24:25], off offset:208
	ds_read_b128 v[8:11], v176 offset:208
	ds_read_b128 v[12:15], v176 offset:544
	v_mov_b32_e32 v18, s5
	s_waitcnt vmcnt(0) lgkmcnt(1)
	v_mul_f64 v[16:17], v[10:11], v[6:7]
	v_mul_f64 v[6:7], v[8:9], v[6:7]
	v_fma_f64 v[8:9], v[8:9], v[4:5], v[16:17]
	v_fma_f64 v[6:7], v[4:5], v[10:11], -v[6:7]
	v_mul_f64 v[4:5], v[8:9], s[2:3]
	v_mul_f64 v[6:7], v[6:7], s[2:3]
	v_mov_b32_e32 v8, 0xfffff110
	v_mad_u64_u32 v[0:1], s[0:1], s8, v8, v[0:1]
	s_mul_i32 s0, s9, 0xfffff110
	s_sub_i32 s0, s0, s8
	v_add_u32_e32 v1, s0, v1
	global_store_dwordx4 v[0:1], v[4:7], off
	global_load_dwordx4 v[4:7], v[24:25], off offset:544
	v_add_co_u32_e32 v0, vcc, s4, v0
	v_addc_co_u32_e32 v1, vcc, v1, v18, vcc
	s_waitcnt vmcnt(0) lgkmcnt(0)
	v_mul_f64 v[8:9], v[14:15], v[6:7]
	v_mul_f64 v[6:7], v[12:13], v[6:7]
	v_fma_f64 v[8:9], v[12:13], v[4:5], v[8:9]
	v_fma_f64 v[6:7], v[4:5], v[14:15], -v[6:7]
	v_mul_f64 v[4:5], v[8:9], s[2:3]
	v_mul_f64 v[6:7], v[6:7], s[2:3]
	global_store_dwordx4 v[0:1], v[4:7], off
	global_load_dwordx4 v[4:7], v[24:25], off offset:880
	ds_read_b128 v[8:11], v176 offset:880
	ds_read_b128 v[12:15], v176 offset:1216
	v_add_co_u32_e32 v0, vcc, s4, v0
	v_addc_co_u32_e32 v1, vcc, v1, v18, vcc
	s_waitcnt vmcnt(0) lgkmcnt(1)
	v_mul_f64 v[16:17], v[10:11], v[6:7]
	v_mul_f64 v[6:7], v[8:9], v[6:7]
	v_fma_f64 v[8:9], v[8:9], v[4:5], v[16:17]
	v_fma_f64 v[6:7], v[4:5], v[10:11], -v[6:7]
	v_mul_f64 v[4:5], v[8:9], s[2:3]
	v_mul_f64 v[6:7], v[6:7], s[2:3]
	global_store_dwordx4 v[0:1], v[4:7], off
	global_load_dwordx4 v[4:7], v[24:25], off offset:1216
	v_add_co_u32_e32 v0, vcc, s4, v0
	v_addc_co_u32_e32 v1, vcc, v1, v18, vcc
	s_waitcnt vmcnt(0) lgkmcnt(0)
	v_mul_f64 v[8:9], v[14:15], v[6:7]
	v_mul_f64 v[6:7], v[12:13], v[6:7]
	v_fma_f64 v[8:9], v[12:13], v[4:5], v[8:9]
	v_fma_f64 v[6:7], v[4:5], v[14:15], -v[6:7]
	v_mul_f64 v[4:5], v[8:9], s[2:3]
	v_mul_f64 v[6:7], v[6:7], s[2:3]
	global_store_dwordx4 v[0:1], v[4:7], off
	global_load_dwordx4 v[4:7], v[24:25], off offset:1552
	ds_read_b128 v[8:11], v176 offset:1552
	ds_read_b128 v[12:15], v176 offset:1888
	v_add_co_u32_e32 v0, vcc, s4, v0
	v_addc_co_u32_e32 v1, vcc, v1, v18, vcc
	s_waitcnt vmcnt(0) lgkmcnt(1)
	v_mul_f64 v[16:17], v[10:11], v[6:7]
	v_mul_f64 v[6:7], v[8:9], v[6:7]
	v_fma_f64 v[8:9], v[8:9], v[4:5], v[16:17]
	v_fma_f64 v[6:7], v[4:5], v[10:11], -v[6:7]
	v_mul_f64 v[4:5], v[8:9], s[2:3]
	v_mul_f64 v[6:7], v[6:7], s[2:3]
	global_store_dwordx4 v[0:1], v[4:7], off
	global_load_dwordx4 v[4:7], v[24:25], off offset:1888
	v_add_co_u32_e32 v0, vcc, s4, v0
	v_addc_co_u32_e32 v1, vcc, v1, v18, vcc
	s_waitcnt vmcnt(0) lgkmcnt(0)
	v_mul_f64 v[8:9], v[14:15], v[6:7]
	v_mul_f64 v[6:7], v[12:13], v[6:7]
	v_fma_f64 v[8:9], v[12:13], v[4:5], v[8:9]
	v_fma_f64 v[6:7], v[4:5], v[14:15], -v[6:7]
	v_mul_f64 v[4:5], v[8:9], s[2:3]
	v_mul_f64 v[6:7], v[6:7], s[2:3]
	global_store_dwordx4 v[0:1], v[4:7], off
	global_load_dwordx4 v[4:7], v[24:25], off offset:2224
	ds_read_b128 v[8:11], v176 offset:2224
	ds_read_b128 v[12:15], v176 offset:2560
	s_waitcnt vmcnt(0) lgkmcnt(1)
	v_mul_f64 v[16:17], v[10:11], v[6:7]
	v_mul_f64 v[6:7], v[8:9], v[6:7]
	v_fma_f64 v[8:9], v[8:9], v[4:5], v[16:17]
	v_fma_f64 v[6:7], v[4:5], v[10:11], -v[6:7]
	v_add_co_u32_e32 v16, vcc, s4, v0
	v_addc_co_u32_e32 v17, vcc, v1, v18, vcc
	v_or_b32_e32 v10, 0xa0, v31
	v_mul_f64 v[4:5], v[8:9], s[2:3]
	v_mul_f64 v[6:7], v[6:7], s[2:3]
	v_mad_u64_u32 v[8:9], s[0:1], s8, v10, 0
	global_store_dwordx4 v[16:17], v[4:7], off
	global_load_dwordx4 v[4:7], v[24:25], off offset:2560
	s_waitcnt vmcnt(0) lgkmcnt(0)
	v_mul_f64 v[0:1], v[14:15], v[6:7]
	v_mul_f64 v[6:7], v[12:13], v[6:7]
	v_fma_f64 v[0:1], v[12:13], v[4:5], v[0:1]
	v_fma_f64 v[6:7], v[4:5], v[14:15], -v[6:7]
	v_mov_b32_e32 v4, v9
	v_mad_u64_u32 v[9:10], s[0:1], s9, v10, v[4:5]
	v_mul_f64 v[4:5], v[0:1], s[2:3]
	v_mul_f64 v[6:7], v[6:7], s[2:3]
	v_lshlrev_b64 v[0:1], 4, v[8:9]
	v_add_co_u32_e32 v0, vcc, v2, v0
	v_addc_co_u32_e32 v1, vcc, v3, v1, vcc
	global_store_dwordx4 v[0:1], v[4:7], off
	global_load_dwordx4 v[0:3], v[24:25], off offset:2896
	ds_read_b128 v[4:7], v176 offset:2896
	ds_read_b128 v[8:11], v176 offset:3232
	s_waitcnt vmcnt(0) lgkmcnt(1)
	v_mul_f64 v[12:13], v[6:7], v[2:3]
	v_mul_f64 v[2:3], v[4:5], v[2:3]
	v_fma_f64 v[4:5], v[4:5], v[0:1], v[12:13]
	v_fma_f64 v[2:3], v[0:1], v[6:7], -v[2:3]
	v_mul_f64 v[0:1], v[4:5], s[2:3]
	v_mul_f64 v[2:3], v[2:3], s[2:3]
	v_mov_b32_e32 v4, 0x2a0
	v_mad_u64_u32 v[4:5], s[0:1], s8, v4, v[16:17]
	s_mul_i32 s0, s9, 0x2a0
	v_add_u32_e32 v5, s0, v5
	v_add_co_u32_e32 v12, vcc, s4, v4
	global_store_dwordx4 v[4:5], v[0:3], off
	global_load_dwordx4 v[0:3], v[24:25], off offset:3232
	v_addc_co_u32_e32 v13, vcc, v5, v18, vcc
	s_movk_i32 s0, 0x1000
	s_waitcnt vmcnt(0) lgkmcnt(0)
	v_mul_f64 v[6:7], v[10:11], v[2:3]
	v_mul_f64 v[2:3], v[8:9], v[2:3]
	v_fma_f64 v[6:7], v[8:9], v[0:1], v[6:7]
	v_fma_f64 v[2:3], v[0:1], v[10:11], -v[2:3]
	v_mul_f64 v[0:1], v[6:7], s[2:3]
	v_mul_f64 v[2:3], v[2:3], s[2:3]
	global_store_dwordx4 v[12:13], v[0:3], off
	global_load_dwordx4 v[0:3], v[24:25], off offset:3568
	ds_read_b128 v[4:7], v176 offset:3568
	ds_read_b128 v[8:11], v176 offset:3904
	s_waitcnt vmcnt(0) lgkmcnt(1)
	v_mul_f64 v[14:15], v[6:7], v[2:3]
	v_mul_f64 v[2:3], v[4:5], v[2:3]
	v_fma_f64 v[4:5], v[4:5], v[0:1], v[14:15]
	v_fma_f64 v[2:3], v[0:1], v[6:7], -v[2:3]
	v_mul_f64 v[0:1], v[4:5], s[2:3]
	v_mul_f64 v[2:3], v[2:3], s[2:3]
	v_add_co_u32_e32 v4, vcc, s4, v12
	v_addc_co_u32_e32 v5, vcc, v13, v18, vcc
	global_store_dwordx4 v[4:5], v[0:3], off
	global_load_dwordx4 v[0:3], v[24:25], off offset:3904
	s_waitcnt vmcnt(0) lgkmcnt(0)
	v_mul_f64 v[6:7], v[10:11], v[2:3]
	v_mul_f64 v[2:3], v[8:9], v[2:3]
	v_fma_f64 v[6:7], v[8:9], v[0:1], v[6:7]
	v_fma_f64 v[2:3], v[0:1], v[10:11], -v[2:3]
	v_mul_f64 v[0:1], v[6:7], s[2:3]
	v_mul_f64 v[2:3], v[2:3], s[2:3]
	v_add_co_u32_e32 v6, vcc, s0, v24
	v_addc_co_u32_e32 v7, vcc, 0, v25, vcc
	v_add_co_u32_e32 v8, vcc, s4, v4
	v_addc_co_u32_e32 v9, vcc, v5, v18, vcc
	global_store_dwordx4 v[8:9], v[0:3], off
	global_load_dwordx4 v[0:3], v[6:7], off offset:144
	ds_read_b128 v[4:7], v176 offset:4240
	s_waitcnt vmcnt(0) lgkmcnt(0)
	v_mul_f64 v[10:11], v[6:7], v[2:3]
	v_mul_f64 v[2:3], v[4:5], v[2:3]
	v_fma_f64 v[4:5], v[4:5], v[0:1], v[10:11]
	v_fma_f64 v[2:3], v[0:1], v[6:7], -v[2:3]
	v_mul_f64 v[0:1], v[4:5], s[2:3]
	v_mul_f64 v[2:3], v[2:3], s[2:3]
	v_add_co_u32_e32 v4, vcc, s4, v8
	v_addc_co_u32_e32 v5, vcc, v9, v18, vcc
	global_store_dwordx4 v[4:5], v[0:3], off
.LBB0_15:
	s_endpgm
	.section	.rodata,"a",@progbits
	.p2align	6, 0x0
	.amdhsa_kernel bluestein_single_fwd_len273_dim1_dp_op_CI_CI
		.amdhsa_group_segment_fixed_size 17472
		.amdhsa_private_segment_fixed_size 516
		.amdhsa_kernarg_size 104
		.amdhsa_user_sgpr_count 6
		.amdhsa_user_sgpr_private_segment_buffer 1
		.amdhsa_user_sgpr_dispatch_ptr 0
		.amdhsa_user_sgpr_queue_ptr 0
		.amdhsa_user_sgpr_kernarg_segment_ptr 1
		.amdhsa_user_sgpr_dispatch_id 0
		.amdhsa_user_sgpr_flat_scratch_init 0
		.amdhsa_user_sgpr_private_segment_size 0
		.amdhsa_uses_dynamic_stack 0
		.amdhsa_system_sgpr_private_segment_wavefront_offset 1
		.amdhsa_system_sgpr_workgroup_id_x 1
		.amdhsa_system_sgpr_workgroup_id_y 0
		.amdhsa_system_sgpr_workgroup_id_z 0
		.amdhsa_system_sgpr_workgroup_info 0
		.amdhsa_system_vgpr_workitem_id 0
		.amdhsa_next_free_vgpr 256
		.amdhsa_next_free_sgpr 56
		.amdhsa_reserve_vcc 1
		.amdhsa_reserve_flat_scratch 0
		.amdhsa_float_round_mode_32 0
		.amdhsa_float_round_mode_16_64 0
		.amdhsa_float_denorm_mode_32 3
		.amdhsa_float_denorm_mode_16_64 3
		.amdhsa_dx10_clamp 1
		.amdhsa_ieee_mode 1
		.amdhsa_fp16_overflow 0
		.amdhsa_exception_fp_ieee_invalid_op 0
		.amdhsa_exception_fp_denorm_src 0
		.amdhsa_exception_fp_ieee_div_zero 0
		.amdhsa_exception_fp_ieee_overflow 0
		.amdhsa_exception_fp_ieee_underflow 0
		.amdhsa_exception_fp_ieee_inexact 0
		.amdhsa_exception_int_div_zero 0
	.end_amdhsa_kernel
	.text
.Lfunc_end0:
	.size	bluestein_single_fwd_len273_dim1_dp_op_CI_CI, .Lfunc_end0-bluestein_single_fwd_len273_dim1_dp_op_CI_CI
                                        ; -- End function
	.section	.AMDGPU.csdata,"",@progbits
; Kernel info:
; codeLenInByte = 35044
; NumSgprs: 60
; NumVgprs: 256
; ScratchSize: 516
; MemoryBound: 0
; FloatMode: 240
; IeeeMode: 1
; LDSByteSize: 17472 bytes/workgroup (compile time only)
; SGPRBlocks: 7
; VGPRBlocks: 63
; NumSGPRsForWavesPerEU: 60
; NumVGPRsForWavesPerEU: 256
; Occupancy: 1
; WaveLimiterHint : 1
; COMPUTE_PGM_RSRC2:SCRATCH_EN: 1
; COMPUTE_PGM_RSRC2:USER_SGPR: 6
; COMPUTE_PGM_RSRC2:TRAP_HANDLER: 0
; COMPUTE_PGM_RSRC2:TGID_X_EN: 1
; COMPUTE_PGM_RSRC2:TGID_Y_EN: 0
; COMPUTE_PGM_RSRC2:TGID_Z_EN: 0
; COMPUTE_PGM_RSRC2:TIDIG_COMP_CNT: 0
	.type	__hip_cuid_5db93b98afd1928f,@object ; @__hip_cuid_5db93b98afd1928f
	.section	.bss,"aw",@nobits
	.globl	__hip_cuid_5db93b98afd1928f
__hip_cuid_5db93b98afd1928f:
	.byte	0                               ; 0x0
	.size	__hip_cuid_5db93b98afd1928f, 1

	.ident	"AMD clang version 19.0.0git (https://github.com/RadeonOpenCompute/llvm-project roc-6.4.0 25133 c7fe45cf4b819c5991fe208aaa96edf142730f1d)"
	.section	".note.GNU-stack","",@progbits
	.addrsig
	.addrsig_sym __hip_cuid_5db93b98afd1928f
	.amdgpu_metadata
---
amdhsa.kernels:
  - .args:
      - .actual_access:  read_only
        .address_space:  global
        .offset:         0
        .size:           8
        .value_kind:     global_buffer
      - .actual_access:  read_only
        .address_space:  global
        .offset:         8
        .size:           8
        .value_kind:     global_buffer
      - .actual_access:  read_only
        .address_space:  global
        .offset:         16
        .size:           8
        .value_kind:     global_buffer
      - .actual_access:  read_only
        .address_space:  global
        .offset:         24
        .size:           8
        .value_kind:     global_buffer
      - .actual_access:  read_only
        .address_space:  global
        .offset:         32
        .size:           8
        .value_kind:     global_buffer
      - .offset:         40
        .size:           8
        .value_kind:     by_value
      - .address_space:  global
        .offset:         48
        .size:           8
        .value_kind:     global_buffer
      - .address_space:  global
        .offset:         56
        .size:           8
        .value_kind:     global_buffer
      - .address_space:  global
        .offset:         64
        .size:           8
        .value_kind:     global_buffer
      - .address_space:  global
        .offset:         72
        .size:           8
        .value_kind:     global_buffer
      - .offset:         80
        .size:           4
        .value_kind:     by_value
      - .address_space:  global
        .offset:         88
        .size:           8
        .value_kind:     global_buffer
      - .address_space:  global
        .offset:         96
        .size:           8
        .value_kind:     global_buffer
    .group_segment_fixed_size: 17472
    .kernarg_segment_align: 8
    .kernarg_segment_size: 104
    .language:       OpenCL C
    .language_version:
      - 2
      - 0
    .max_flat_workgroup_size: 52
    .name:           bluestein_single_fwd_len273_dim1_dp_op_CI_CI
    .private_segment_fixed_size: 516
    .sgpr_count:     60
    .sgpr_spill_count: 0
    .symbol:         bluestein_single_fwd_len273_dim1_dp_op_CI_CI.kd
    .uniform_work_group_size: 1
    .uses_dynamic_stack: false
    .vgpr_count:     256
    .vgpr_spill_count: 170
    .wavefront_size: 64
amdhsa.target:   amdgcn-amd-amdhsa--gfx906
amdhsa.version:
  - 1
  - 2
...

	.end_amdgpu_metadata
